;; amdgpu-corpus repo=ROCm/rocFFT kind=compiled arch=gfx1100 opt=O3
	.text
	.amdgcn_target "amdgcn-amd-amdhsa--gfx1100"
	.amdhsa_code_object_version 6
	.protected	fft_rtc_back_len1650_factors_11_2_3_5_5_wgs_110_tpt_110_halfLds_dp_op_CI_CI_unitstride_sbrr_R2C_dirReg ; -- Begin function fft_rtc_back_len1650_factors_11_2_3_5_5_wgs_110_tpt_110_halfLds_dp_op_CI_CI_unitstride_sbrr_R2C_dirReg
	.globl	fft_rtc_back_len1650_factors_11_2_3_5_5_wgs_110_tpt_110_halfLds_dp_op_CI_CI_unitstride_sbrr_R2C_dirReg
	.p2align	8
	.type	fft_rtc_back_len1650_factors_11_2_3_5_5_wgs_110_tpt_110_halfLds_dp_op_CI_CI_unitstride_sbrr_R2C_dirReg,@function
fft_rtc_back_len1650_factors_11_2_3_5_5_wgs_110_tpt_110_halfLds_dp_op_CI_CI_unitstride_sbrr_R2C_dirReg: ; @fft_rtc_back_len1650_factors_11_2_3_5_5_wgs_110_tpt_110_halfLds_dp_op_CI_CI_unitstride_sbrr_R2C_dirReg
; %bb.0:
	s_clause 0x2
	s_load_b128 s[8:11], s[0:1], 0x0
	s_load_b128 s[4:7], s[0:1], 0x58
	;; [unrolled: 1-line block ×3, first 2 shown]
	v_mul_u32_u24_e32 v1, 0x254, v0
	v_mov_b32_e32 v3, 0
	s_delay_alu instid0(VALU_DEP_2) | instskip(NEXT) | instid1(VALU_DEP_1)
	v_lshrrev_b32_e32 v1, 16, v1
	v_add_nc_u32_e32 v5, s15, v1
	v_mov_b32_e32 v1, 0
	v_mov_b32_e32 v2, 0
	;; [unrolled: 1-line block ×3, first 2 shown]
	s_waitcnt lgkmcnt(0)
	v_cmp_lt_u64_e64 s2, s[10:11], 2
	s_delay_alu instid0(VALU_DEP_1)
	s_and_b32 vcc_lo, exec_lo, s2
	s_cbranch_vccnz .LBB0_8
; %bb.1:
	s_load_b64 s[2:3], s[0:1], 0x10
	v_mov_b32_e32 v1, 0
	v_mov_b32_e32 v2, 0
	s_add_u32 s12, s18, 8
	s_addc_u32 s13, s19, 0
	s_add_u32 s14, s16, 8
	s_addc_u32 s15, s17, 0
	v_dual_mov_b32 v89, v2 :: v_dual_mov_b32 v88, v1
	s_mov_b64 s[22:23], 1
	s_waitcnt lgkmcnt(0)
	s_add_u32 s20, s2, 8
	s_addc_u32 s21, s3, 0
.LBB0_2:                                ; =>This Inner Loop Header: Depth=1
	s_load_b64 s[24:25], s[20:21], 0x0
                                        ; implicit-def: $vgpr92_vgpr93
	s_mov_b32 s2, exec_lo
	s_waitcnt lgkmcnt(0)
	v_or_b32_e32 v4, s25, v6
	s_delay_alu instid0(VALU_DEP_1)
	v_cmpx_ne_u64_e32 0, v[3:4]
	s_xor_b32 s3, exec_lo, s2
	s_cbranch_execz .LBB0_4
; %bb.3:                                ;   in Loop: Header=BB0_2 Depth=1
	v_cvt_f32_u32_e32 v4, s24
	v_cvt_f32_u32_e32 v7, s25
	s_sub_u32 s2, 0, s24
	s_subb_u32 s26, 0, s25
	s_delay_alu instid0(VALU_DEP_1) | instskip(NEXT) | instid1(VALU_DEP_1)
	v_fmac_f32_e32 v4, 0x4f800000, v7
	v_rcp_f32_e32 v4, v4
	s_waitcnt_depctr 0xfff
	v_mul_f32_e32 v4, 0x5f7ffffc, v4
	s_delay_alu instid0(VALU_DEP_1) | instskip(NEXT) | instid1(VALU_DEP_1)
	v_mul_f32_e32 v7, 0x2f800000, v4
	v_trunc_f32_e32 v7, v7
	s_delay_alu instid0(VALU_DEP_1) | instskip(SKIP_1) | instid1(VALU_DEP_2)
	v_fmac_f32_e32 v4, 0xcf800000, v7
	v_cvt_u32_f32_e32 v7, v7
	v_cvt_u32_f32_e32 v4, v4
	s_delay_alu instid0(VALU_DEP_2) | instskip(NEXT) | instid1(VALU_DEP_2)
	v_mul_lo_u32 v8, s2, v7
	v_mul_hi_u32 v9, s2, v4
	v_mul_lo_u32 v10, s26, v4
	s_delay_alu instid0(VALU_DEP_2) | instskip(SKIP_1) | instid1(VALU_DEP_2)
	v_add_nc_u32_e32 v8, v9, v8
	v_mul_lo_u32 v9, s2, v4
	v_add_nc_u32_e32 v8, v8, v10
	s_delay_alu instid0(VALU_DEP_2) | instskip(NEXT) | instid1(VALU_DEP_2)
	v_mul_hi_u32 v10, v4, v9
	v_mul_lo_u32 v11, v4, v8
	v_mul_hi_u32 v12, v4, v8
	v_mul_hi_u32 v13, v7, v9
	v_mul_lo_u32 v9, v7, v9
	v_mul_hi_u32 v14, v7, v8
	v_mul_lo_u32 v8, v7, v8
	v_add_co_u32 v10, vcc_lo, v10, v11
	v_add_co_ci_u32_e32 v11, vcc_lo, 0, v12, vcc_lo
	s_delay_alu instid0(VALU_DEP_2) | instskip(NEXT) | instid1(VALU_DEP_2)
	v_add_co_u32 v9, vcc_lo, v10, v9
	v_add_co_ci_u32_e32 v9, vcc_lo, v11, v13, vcc_lo
	v_add_co_ci_u32_e32 v10, vcc_lo, 0, v14, vcc_lo
	s_delay_alu instid0(VALU_DEP_2) | instskip(NEXT) | instid1(VALU_DEP_2)
	v_add_co_u32 v8, vcc_lo, v9, v8
	v_add_co_ci_u32_e32 v9, vcc_lo, 0, v10, vcc_lo
	s_delay_alu instid0(VALU_DEP_2) | instskip(NEXT) | instid1(VALU_DEP_2)
	v_add_co_u32 v4, vcc_lo, v4, v8
	v_add_co_ci_u32_e32 v7, vcc_lo, v7, v9, vcc_lo
	s_delay_alu instid0(VALU_DEP_2) | instskip(SKIP_1) | instid1(VALU_DEP_3)
	v_mul_hi_u32 v8, s2, v4
	v_mul_lo_u32 v10, s26, v4
	v_mul_lo_u32 v9, s2, v7
	s_delay_alu instid0(VALU_DEP_1) | instskip(SKIP_1) | instid1(VALU_DEP_2)
	v_add_nc_u32_e32 v8, v8, v9
	v_mul_lo_u32 v9, s2, v4
	v_add_nc_u32_e32 v8, v8, v10
	s_delay_alu instid0(VALU_DEP_2) | instskip(NEXT) | instid1(VALU_DEP_2)
	v_mul_hi_u32 v10, v4, v9
	v_mul_lo_u32 v11, v4, v8
	v_mul_hi_u32 v12, v4, v8
	v_mul_hi_u32 v13, v7, v9
	v_mul_lo_u32 v9, v7, v9
	v_mul_hi_u32 v14, v7, v8
	v_mul_lo_u32 v8, v7, v8
	v_add_co_u32 v10, vcc_lo, v10, v11
	v_add_co_ci_u32_e32 v11, vcc_lo, 0, v12, vcc_lo
	s_delay_alu instid0(VALU_DEP_2) | instskip(NEXT) | instid1(VALU_DEP_2)
	v_add_co_u32 v9, vcc_lo, v10, v9
	v_add_co_ci_u32_e32 v9, vcc_lo, v11, v13, vcc_lo
	v_add_co_ci_u32_e32 v10, vcc_lo, 0, v14, vcc_lo
	s_delay_alu instid0(VALU_DEP_2) | instskip(NEXT) | instid1(VALU_DEP_2)
	v_add_co_u32 v8, vcc_lo, v9, v8
	v_add_co_ci_u32_e32 v9, vcc_lo, 0, v10, vcc_lo
	s_delay_alu instid0(VALU_DEP_2) | instskip(NEXT) | instid1(VALU_DEP_2)
	v_add_co_u32 v4, vcc_lo, v4, v8
	v_add_co_ci_u32_e32 v13, vcc_lo, v7, v9, vcc_lo
	s_delay_alu instid0(VALU_DEP_2) | instskip(SKIP_1) | instid1(VALU_DEP_3)
	v_mul_hi_u32 v14, v5, v4
	v_mad_u64_u32 v[9:10], null, v6, v4, 0
	v_mad_u64_u32 v[7:8], null, v5, v13, 0
	;; [unrolled: 1-line block ×3, first 2 shown]
	s_delay_alu instid0(VALU_DEP_2) | instskip(NEXT) | instid1(VALU_DEP_3)
	v_add_co_u32 v4, vcc_lo, v14, v7
	v_add_co_ci_u32_e32 v7, vcc_lo, 0, v8, vcc_lo
	s_delay_alu instid0(VALU_DEP_2) | instskip(NEXT) | instid1(VALU_DEP_2)
	v_add_co_u32 v4, vcc_lo, v4, v9
	v_add_co_ci_u32_e32 v4, vcc_lo, v7, v10, vcc_lo
	v_add_co_ci_u32_e32 v7, vcc_lo, 0, v12, vcc_lo
	s_delay_alu instid0(VALU_DEP_2) | instskip(NEXT) | instid1(VALU_DEP_2)
	v_add_co_u32 v4, vcc_lo, v4, v11
	v_add_co_ci_u32_e32 v9, vcc_lo, 0, v7, vcc_lo
	s_delay_alu instid0(VALU_DEP_2) | instskip(SKIP_1) | instid1(VALU_DEP_3)
	v_mul_lo_u32 v10, s25, v4
	v_mad_u64_u32 v[7:8], null, s24, v4, 0
	v_mul_lo_u32 v11, s24, v9
	s_delay_alu instid0(VALU_DEP_2) | instskip(NEXT) | instid1(VALU_DEP_2)
	v_sub_co_u32 v7, vcc_lo, v5, v7
	v_add3_u32 v8, v8, v11, v10
	s_delay_alu instid0(VALU_DEP_1) | instskip(NEXT) | instid1(VALU_DEP_1)
	v_sub_nc_u32_e32 v10, v6, v8
	v_subrev_co_ci_u32_e64 v10, s2, s25, v10, vcc_lo
	v_add_co_u32 v11, s2, v4, 2
	s_delay_alu instid0(VALU_DEP_1) | instskip(SKIP_3) | instid1(VALU_DEP_3)
	v_add_co_ci_u32_e64 v12, s2, 0, v9, s2
	v_sub_co_u32 v13, s2, v7, s24
	v_sub_co_ci_u32_e32 v8, vcc_lo, v6, v8, vcc_lo
	v_subrev_co_ci_u32_e64 v10, s2, 0, v10, s2
	v_cmp_le_u32_e32 vcc_lo, s24, v13
	s_delay_alu instid0(VALU_DEP_3) | instskip(SKIP_1) | instid1(VALU_DEP_4)
	v_cmp_eq_u32_e64 s2, s25, v8
	v_cndmask_b32_e64 v13, 0, -1, vcc_lo
	v_cmp_le_u32_e32 vcc_lo, s25, v10
	v_cndmask_b32_e64 v14, 0, -1, vcc_lo
	v_cmp_le_u32_e32 vcc_lo, s24, v7
	;; [unrolled: 2-line block ×3, first 2 shown]
	v_cndmask_b32_e64 v15, 0, -1, vcc_lo
	v_cmp_eq_u32_e32 vcc_lo, s25, v10
	s_delay_alu instid0(VALU_DEP_2) | instskip(SKIP_3) | instid1(VALU_DEP_3)
	v_cndmask_b32_e64 v7, v15, v7, s2
	v_cndmask_b32_e32 v10, v14, v13, vcc_lo
	v_add_co_u32 v13, vcc_lo, v4, 1
	v_add_co_ci_u32_e32 v14, vcc_lo, 0, v9, vcc_lo
	v_cmp_ne_u32_e32 vcc_lo, 0, v10
	s_delay_alu instid0(VALU_DEP_2) | instskip(NEXT) | instid1(VALU_DEP_4)
	v_cndmask_b32_e32 v8, v14, v12, vcc_lo
	v_cndmask_b32_e32 v10, v13, v11, vcc_lo
	v_cmp_ne_u32_e32 vcc_lo, 0, v7
	s_delay_alu instid0(VALU_DEP_2)
	v_dual_cndmask_b32 v93, v9, v8 :: v_dual_cndmask_b32 v92, v4, v10
.LBB0_4:                                ;   in Loop: Header=BB0_2 Depth=1
	s_and_not1_saveexec_b32 s2, s3
	s_cbranch_execz .LBB0_6
; %bb.5:                                ;   in Loop: Header=BB0_2 Depth=1
	v_cvt_f32_u32_e32 v4, s24
	s_sub_i32 s3, 0, s24
	v_mov_b32_e32 v93, v3
	s_delay_alu instid0(VALU_DEP_2) | instskip(SKIP_2) | instid1(VALU_DEP_1)
	v_rcp_iflag_f32_e32 v4, v4
	s_waitcnt_depctr 0xfff
	v_mul_f32_e32 v4, 0x4f7ffffe, v4
	v_cvt_u32_f32_e32 v4, v4
	s_delay_alu instid0(VALU_DEP_1) | instskip(NEXT) | instid1(VALU_DEP_1)
	v_mul_lo_u32 v7, s3, v4
	v_mul_hi_u32 v7, v4, v7
	s_delay_alu instid0(VALU_DEP_1) | instskip(NEXT) | instid1(VALU_DEP_1)
	v_add_nc_u32_e32 v4, v4, v7
	v_mul_hi_u32 v4, v5, v4
	s_delay_alu instid0(VALU_DEP_1) | instskip(SKIP_1) | instid1(VALU_DEP_2)
	v_mul_lo_u32 v7, v4, s24
	v_add_nc_u32_e32 v8, 1, v4
	v_sub_nc_u32_e32 v7, v5, v7
	s_delay_alu instid0(VALU_DEP_1) | instskip(SKIP_1) | instid1(VALU_DEP_2)
	v_subrev_nc_u32_e32 v9, s24, v7
	v_cmp_le_u32_e32 vcc_lo, s24, v7
	v_dual_cndmask_b32 v7, v7, v9 :: v_dual_cndmask_b32 v4, v4, v8
	s_delay_alu instid0(VALU_DEP_1) | instskip(NEXT) | instid1(VALU_DEP_2)
	v_cmp_le_u32_e32 vcc_lo, s24, v7
	v_add_nc_u32_e32 v8, 1, v4
	s_delay_alu instid0(VALU_DEP_1)
	v_cndmask_b32_e32 v92, v4, v8, vcc_lo
.LBB0_6:                                ;   in Loop: Header=BB0_2 Depth=1
	s_or_b32 exec_lo, exec_lo, s2
	s_delay_alu instid0(VALU_DEP_1) | instskip(NEXT) | instid1(VALU_DEP_2)
	v_mul_lo_u32 v4, v93, s24
	v_mul_lo_u32 v9, v92, s25
	s_load_b64 s[2:3], s[14:15], 0x0
	v_mad_u64_u32 v[7:8], null, v92, s24, 0
	s_load_b64 s[24:25], s[12:13], 0x0
	s_add_u32 s22, s22, 1
	s_addc_u32 s23, s23, 0
	s_add_u32 s12, s12, 8
	s_addc_u32 s13, s13, 0
	s_add_u32 s14, s14, 8
	s_delay_alu instid0(VALU_DEP_1) | instskip(SKIP_3) | instid1(VALU_DEP_2)
	v_add3_u32 v4, v8, v9, v4
	v_sub_co_u32 v8, vcc_lo, v5, v7
	s_addc_u32 s15, s15, 0
	s_add_u32 s20, s20, 8
	v_sub_co_ci_u32_e32 v6, vcc_lo, v6, v4, vcc_lo
	s_addc_u32 s21, s21, 0
	s_waitcnt lgkmcnt(0)
	s_delay_alu instid0(VALU_DEP_1)
	v_mul_lo_u32 v9, s2, v6
	v_mul_lo_u32 v10, s3, v8
	v_mad_u64_u32 v[4:5], null, s2, v8, v[1:2]
	v_mul_lo_u32 v11, s24, v6
	v_mul_lo_u32 v12, s25, v8
	v_mad_u64_u32 v[6:7], null, s24, v8, v[88:89]
	v_cmp_ge_u64_e64 s2, s[22:23], s[10:11]
	v_add3_u32 v2, v10, v5, v9
	s_delay_alu instid0(VALU_DEP_3) | instskip(NEXT) | instid1(VALU_DEP_4)
	v_dual_mov_b32 v1, v4 :: v_dual_mov_b32 v88, v6
	v_add3_u32 v89, v12, v7, v11
	s_delay_alu instid0(VALU_DEP_4)
	s_and_b32 vcc_lo, exec_lo, s2
	s_cbranch_vccnz .LBB0_9
; %bb.7:                                ;   in Loop: Header=BB0_2 Depth=1
	v_dual_mov_b32 v5, v92 :: v_dual_mov_b32 v6, v93
	s_branch .LBB0_2
.LBB0_8:
	v_dual_mov_b32 v89, v2 :: v_dual_mov_b32 v88, v1
	v_dual_mov_b32 v93, v6 :: v_dual_mov_b32 v92, v5
.LBB0_9:
	s_load_b64 s[0:1], s[0:1], 0x28
	v_mul_hi_u32 v3, 0x253c826, v0
	s_lshl_b64 s[10:11], s[10:11], 3
                                        ; implicit-def: $vgpr90
                                        ; implicit-def: $vgpr94
	s_delay_alu instid0(SALU_CYCLE_1) | instskip(SKIP_4) | instid1(VALU_DEP_1)
	s_add_u32 s2, s18, s10
	s_addc_u32 s3, s19, s11
	s_waitcnt lgkmcnt(0)
	v_cmp_gt_u64_e32 vcc_lo, s[0:1], v[92:93]
	v_cmp_le_u64_e64 s0, s[0:1], v[92:93]
	s_and_saveexec_b32 s1, s0
	s_delay_alu instid0(SALU_CYCLE_1)
	s_xor_b32 s0, exec_lo, s1
; %bb.10:
	v_mul_u32_u24_e32 v1, 0x6e, v3
                                        ; implicit-def: $vgpr3
	s_delay_alu instid0(VALU_DEP_1) | instskip(NEXT) | instid1(VALU_DEP_1)
	v_sub_nc_u32_e32 v90, v0, v1
                                        ; implicit-def: $vgpr0
                                        ; implicit-def: $vgpr1_vgpr2
	v_add_nc_u32_e32 v94, 0x6e, v90
; %bb.11:
	s_and_not1_saveexec_b32 s1, s0
	s_cbranch_execz .LBB0_13
; %bb.12:
	s_add_u32 s10, s16, s10
	s_addc_u32 s11, s17, s11
	v_lshlrev_b64 v[1:2], 4, v[1:2]
	s_load_b64 s[10:11], s[10:11], 0x0
	s_waitcnt lgkmcnt(0)
	v_mul_lo_u32 v6, s11, v92
	v_mul_lo_u32 v7, s10, v93
	v_mad_u64_u32 v[4:5], null, s10, v92, 0
	s_delay_alu instid0(VALU_DEP_1) | instskip(SKIP_1) | instid1(VALU_DEP_2)
	v_add3_u32 v5, v5, v7, v6
	v_mul_u32_u24_e32 v6, 0x6e, v3
	v_lshlrev_b64 v[3:4], 4, v[4:5]
	s_delay_alu instid0(VALU_DEP_2) | instskip(NEXT) | instid1(VALU_DEP_1)
	v_sub_nc_u32_e32 v90, v0, v6
	v_lshlrev_b32_e32 v60, 4, v90
	s_delay_alu instid0(VALU_DEP_3) | instskip(NEXT) | instid1(VALU_DEP_1)
	v_add_co_u32 v0, s0, s4, v3
	v_add_co_ci_u32_e64 v3, s0, s5, v4, s0
	v_add_nc_u32_e32 v94, 0x6e, v90
	s_delay_alu instid0(VALU_DEP_3) | instskip(NEXT) | instid1(VALU_DEP_1)
	v_add_co_u32 v0, s0, v0, v1
	v_add_co_ci_u32_e64 v1, s0, v3, v2, s0
	s_delay_alu instid0(VALU_DEP_2) | instskip(NEXT) | instid1(VALU_DEP_1)
	v_add_co_u32 v8, s0, v0, v60
	v_add_co_ci_u32_e64 v9, s0, 0, v1, s0
	s_clause 0x1
	global_load_b128 v[0:3], v[8:9], off
	global_load_b128 v[4:7], v[8:9], off offset:1760
	v_add_co_u32 v16, s0, 0x1000, v8
	s_delay_alu instid0(VALU_DEP_1) | instskip(SKIP_1) | instid1(VALU_DEP_1)
	v_add_co_ci_u32_e64 v17, s0, 0, v9, s0
	v_add_co_u32 v24, s0, 0x2000, v8
	v_add_co_ci_u32_e64 v25, s0, 0, v9, s0
	v_add_co_u32 v36, s0, 0x3000, v8
	s_delay_alu instid0(VALU_DEP_1) | instskip(SKIP_1) | instid1(VALU_DEP_1)
	v_add_co_ci_u32_e64 v37, s0, 0, v9, s0
	v_add_co_u32 v44, s0, 0x4000, v8
	v_add_co_ci_u32_e64 v45, s0, 0, v9, s0
	;; [unrolled: 5-line block ×3, first 2 shown]
	s_clause 0xc
	global_load_b128 v[8:11], v[8:9], off offset:3520
	global_load_b128 v[12:15], v[16:17], off offset:1184
	;; [unrolled: 1-line block ×13, first 2 shown]
	v_add_nc_u32_e32 v60, 0, v60
	s_waitcnt vmcnt(14)
	ds_store_b128 v60, v[0:3]
	s_waitcnt vmcnt(13)
	ds_store_b128 v60, v[4:7] offset:1760
	s_waitcnt vmcnt(12)
	ds_store_b128 v60, v[8:11] offset:3520
	;; [unrolled: 2-line block ×14, first 2 shown]
.LBB0_13:
	s_or_b32 exec_lo, exec_lo, s1
	v_lshl_add_u32 v143, v90, 4, 0
	s_load_b64 s[2:3], s[2:3], 0x0
	s_waitcnt lgkmcnt(0)
	s_barrier
	buffer_gl0_inv
	ds_load_b128 v[20:23], v143 offset:2400
	ds_load_b128 v[24:27], v143
	ds_load_b128 v[0:3], v143 offset:1760
	ds_load_b128 v[4:7], v143 offset:4160
	ds_load_b128 v[56:59], v143 offset:4800
	ds_load_b128 v[16:19], v143 offset:24000
	ds_load_b128 v[40:43], v143 offset:6560
	ds_load_b128 v[52:55], v143 offset:21600
	ds_load_b128 v[60:63], v143 offset:7200
	s_mov_b32 s36, 0xf8bb580b
	s_mov_b32 s4, 0x8764f0ba
	;; [unrolled: 1-line block ×14, first 2 shown]
	s_waitcnt lgkmcnt(7)
	v_add_f64 v[8:9], v[24:25], v[20:21]
	v_add_f64 v[10:11], v[26:27], v[22:23]
	s_waitcnt lgkmcnt(3)
	v_add_f64 v[32:33], v[22:23], -v[18:19]
	v_add_f64 v[34:35], v[22:23], v[18:19]
	s_waitcnt lgkmcnt(1)
	v_add_f64 v[111:112], v[58:59], v[54:55]
	v_add_f64 v[113:114], v[58:59], -v[54:55]
	v_add_f64 v[115:116], v[20:21], v[16:17]
	v_add_f64 v[117:118], v[20:21], -v[16:17]
	s_mov_b32 s25, 0xbfe82f19
	s_mov_b32 s19, 0xbfd207e7
	;; [unrolled: 1-line block ×8, first 2 shown]
	v_add_f64 v[66:67], v[56:57], v[52:53]
	v_add_f64 v[76:77], v[56:57], -v[52:53]
	s_mov_b32 s29, 0x3fed1bb4
	s_mov_b32 s27, 0x3fefac9e
	;; [unrolled: 1-line block ×8, first 2 shown]
	v_mad_u32_u24 v91, 0xa0, v90, v143
	v_add_f64 v[28:29], v[8:9], v[56:57]
	v_add_f64 v[30:31], v[10:11], v[58:59]
	v_mul_f64 v[72:73], v[32:33], s[36:37]
	v_mul_f64 v[78:79], v[34:35], s[4:5]
	ds_load_b128 v[8:11], v143 offset:25760
	ds_load_b128 v[44:47], v143 offset:8960
	;; [unrolled: 1-line block ×6, first 2 shown]
	v_mul_f64 v[119:120], v[32:33], s[30:31]
	v_mul_f64 v[121:122], v[34:35], s[16:17]
	;; [unrolled: 1-line block ×10, first 2 shown]
	ds_load_b128 v[48:51], v143 offset:11360
	ds_load_b128 v[103:106], v143 offset:16800
	;; [unrolled: 1-line block ×4, first 2 shown]
	s_waitcnt lgkmcnt(6)
	v_add_f64 v[64:65], v[62:63], -v[101:102]
	v_add_f64 v[70:71], v[62:63], v[101:102]
	v_add_f64 v[84:85], v[60:61], v[99:100]
	v_add_f64 v[74:75], v[60:61], -v[99:100]
	v_add_f64 v[58:59], v[28:29], v[60:61]
	v_add_f64 v[68:69], v[30:31], v[62:63]
	v_fma_f64 v[137:138], v[115:116], s[4:5], v[72:73]
	v_fma_f64 v[141:142], v[117:118], s[22:23], v[78:79]
	v_fma_f64 v[144:145], v[115:116], s[4:5], -v[72:73]
	v_fma_f64 v[146:147], v[117:118], s[36:37], v[78:79]
	ds_load_b128 v[107:110], v143 offset:14400
	ds_load_b128 v[32:35], v143 offset:16160
	;; [unrolled: 1-line block ×3, first 2 shown]
	s_waitcnt lgkmcnt(5)
	v_add_f64 v[78:79], v[82:83], v[105:106]
	v_add_f64 v[72:73], v[80:81], -v[103:104]
	v_fma_f64 v[150:151], v[115:116], s[16:17], v[119:120]
	v_fma_f64 v[152:153], v[117:118], s[28:29], v[121:122]
	v_fma_f64 v[119:120], v[115:116], s[16:17], -v[119:120]
	v_fma_f64 v[121:122], v[117:118], s[30:31], v[121:122]
	v_fma_f64 v[154:155], v[115:116], s[10:11], v[123:124]
	v_fma_f64 v[156:157], v[117:118], s[26:27], v[125:126]
	v_fma_f64 v[123:124], v[115:116], s[10:11], -v[123:124]
	v_fma_f64 v[125:126], v[117:118], s[20:21], v[125:126]
	v_fma_f64 v[158:159], v[115:116], s[14:15], v[127:128]
	v_fma_f64 v[160:161], v[117:118], s[0:1], v[129:130]
	v_fma_f64 v[127:128], v[115:116], s[14:15], -v[127:128]
	v_fma_f64 v[129:130], v[117:118], s[24:25], v[129:130]
	v_fma_f64 v[162:163], v[115:116], s[12:13], v[131:132]
	v_fma_f64 v[164:165], v[117:118], s[34:35], v[133:134]
	v_fma_f64 v[115:116], v[115:116], s[12:13], -v[131:132]
	s_waitcnt lgkmcnt(2)
	v_add_f64 v[60:61], v[95:96], v[107:108]
	v_add_f64 v[62:63], v[95:96], -v[107:108]
	v_mul_f64 v[148:149], v[64:65], s[20:21]
	v_fma_f64 v[117:118], v[117:118], s[18:19], v[133:134]
	v_mul_f64 v[131:132], v[70:71], s[10:11]
	v_mul_f64 v[133:134], v[113:114], s[24:25]
	v_fma_f64 v[166:167], v[66:67], s[16:17], v[56:57]
	v_fma_f64 v[168:169], v[76:77], s[28:29], v[139:140]
	v_fma_f64 v[56:57], v[66:67], s[16:17], -v[56:57]
	v_fma_f64 v[139:140], v[76:77], s[30:31], v[139:140]
	v_add_f64 v[86:87], v[97:98], -v[109:110]
	v_mul_f64 v[176:177], v[64:65], s[24:25]
	v_mul_f64 v[178:179], v[70:71], s[14:15]
	s_waitcnt lgkmcnt(0)
	v_add_f64 v[58:59], v[58:59], v[80:81]
	v_add_f64 v[135:136], v[68:69], v[82:83]
	;; [unrolled: 1-line block ×3, first 2 shown]
	v_add_f64 v[80:81], v[82:83], -v[105:106]
	v_add_f64 v[137:138], v[24:25], v[137:138]
	v_add_f64 v[141:142], v[26:27], v[141:142]
	;; [unrolled: 1-line block ×19, first 2 shown]
	s_barrier
	buffer_gl0_inv
	v_mul_f64 v[174:175], v[86:87], s[28:29]
	v_add_f64 v[58:59], v[58:59], v[95:96]
	v_add_f64 v[95:96], v[135:136], v[97:98]
	v_mul_f64 v[135:136], v[111:112], s[14:15]
	v_add_f64 v[97:98], v[24:25], v[115:116]
	v_add_f64 v[24:25], v[26:27], v[117:118]
	v_mul_f64 v[26:27], v[80:81], s[24:25]
	v_mul_f64 v[115:116], v[64:65], s[34:35]
	v_add_f64 v[117:118], v[166:167], v[137:138]
	v_add_f64 v[137:138], v[168:169], v[141:142]
	v_fma_f64 v[141:142], v[84:85], s[10:11], v[148:149]
	v_add_f64 v[56:57], v[56:57], v[144:145]
	v_fma_f64 v[144:145], v[74:75], s[26:27], v[131:132]
	v_add_f64 v[139:140], v[139:140], v[146:147]
	v_mul_f64 v[146:147], v[78:79], s[14:15]
	v_fma_f64 v[148:149], v[84:85], s[10:11], -v[148:149]
	v_fma_f64 v[131:132], v[74:75], s[20:21], v[131:132]
	v_mul_f64 v[162:163], v[80:81], s[26:27]
	v_mul_f64 v[166:167], v[86:87], s[22:23]
	v_fma_f64 v[180:181], v[60:61], s[16:17], v[174:175]
	v_add_f64 v[58:59], v[58:59], v[107:108]
	v_add_f64 v[95:96], v[95:96], v[109:110]
	v_mul_f64 v[107:108], v[70:71], s[12:13]
	v_fma_f64 v[109:110], v[66:67], s[14:15], v[133:134]
	v_fma_f64 v[129:130], v[76:77], s[0:1], v[135:136]
	v_fma_f64 v[133:134], v[66:67], s[14:15], -v[133:134]
	v_fma_f64 v[135:136], v[76:77], s[24:25], v[135:136]
	v_add_f64 v[117:118], v[141:142], v[117:118]
	v_fma_f64 v[141:142], v[68:69], s[14:15], v[26:27]
	v_add_f64 v[137:138], v[144:145], v[137:138]
	v_fma_f64 v[26:27], v[68:69], s[14:15], -v[26:27]
	v_fma_f64 v[144:145], v[72:73], s[0:1], v[146:147]
	v_add_f64 v[56:57], v[148:149], v[56:57]
	v_fma_f64 v[146:147], v[72:73], s[24:25], v[146:147]
	v_add_f64 v[131:132], v[131:132], v[139:140]
	v_mul_f64 v[139:140], v[78:79], s[10:11]
	v_fma_f64 v[148:149], v[68:69], s[10:11], v[162:163]
	v_add_f64 v[58:59], v[58:59], v[103:104]
	v_add_f64 v[95:96], v[95:96], v[105:106]
	v_mul_f64 v[103:104], v[86:87], s[18:19]
	v_mul_f64 v[105:106], v[82:83], s[12:13]
	v_add_f64 v[109:110], v[109:110], v[150:151]
	v_fma_f64 v[150:151], v[84:85], s[12:13], v[115:116]
	v_add_f64 v[129:130], v[129:130], v[152:153]
	v_fma_f64 v[152:153], v[74:75], s[18:19], v[107:108]
	v_fma_f64 v[115:116], v[84:85], s[12:13], -v[115:116]
	v_add_f64 v[121:122], v[135:136], v[121:122]
	v_add_f64 v[117:118], v[141:142], v[117:118]
	v_fma_f64 v[107:108], v[74:75], s[34:35], v[107:108]
	v_mul_f64 v[135:136], v[64:65], s[36:37]
	v_add_f64 v[137:138], v[144:145], v[137:138]
	v_add_f64 v[26:27], v[26:27], v[56:57]
	;; [unrolled: 1-line block ×3, first 2 shown]
	v_fma_f64 v[146:147], v[72:73], s[20:21], v[139:140]
	v_fma_f64 v[139:140], v[72:73], s[26:27], v[139:140]
	v_add_f64 v[99:100], v[58:59], v[99:100]
	v_add_f64 v[95:96], v[95:96], v[101:102]
	v_fma_f64 v[141:142], v[60:61], s[12:13], v[103:104]
	v_fma_f64 v[144:145], v[62:63], s[34:35], v[105:106]
	v_fma_f64 v[103:104], v[60:61], s[12:13], -v[103:104]
	v_add_f64 v[109:110], v[150:151], v[109:110]
	v_fma_f64 v[105:106], v[62:63], s[18:19], v[105:106]
	v_add_f64 v[129:130], v[152:153], v[129:130]
	v_mul_f64 v[152:153], v[82:83], s[4:5]
	v_mul_f64 v[101:102], v[113:114], s[34:35]
	v_mul_f64 v[150:151], v[111:112], s[12:13]
	v_add_f64 v[107:108], v[107:108], v[121:122]
	v_mul_f64 v[121:122], v[78:79], s[4:5]
	v_add_f64 v[52:53], v[99:100], v[52:53]
	v_add_f64 v[54:55], v[95:96], v[54:55]
	;; [unrolled: 1-line block ×4, first 2 shown]
	v_mul_f64 v[117:118], v[64:65], s[28:29]
	v_mul_f64 v[137:138], v[113:114], s[26:27]
	v_add_f64 v[109:110], v[148:149], v[109:110]
	v_fma_f64 v[141:142], v[60:61], s[4:5], v[166:167]
	v_add_f64 v[129:130], v[146:147], v[129:130]
	v_fma_f64 v[168:169], v[62:63], s[36:37], v[152:153]
	v_add_f64 v[144:145], v[103:104], v[26:27]
	v_add_f64 v[146:147], v[105:106], v[131:132]
	v_fma_f64 v[26:27], v[66:67], s[12:13], v[101:102]
	v_add_f64 v[105:106], v[133:134], v[119:120]
	v_fma_f64 v[101:102], v[66:67], s[12:13], -v[101:102]
	v_fma_f64 v[103:104], v[76:77], s[18:19], v[150:151]
	v_mul_f64 v[119:120], v[111:112], s[10:11]
	v_fma_f64 v[131:132], v[76:77], s[34:35], v[150:151]
	v_mul_f64 v[133:134], v[70:71], s[16:17]
	v_add_f64 v[107:108], v[139:140], v[107:108]
	v_mul_f64 v[139:140], v[82:83], s[14:15]
	v_mul_f64 v[113:114], v[113:114], s[22:23]
	;; [unrolled: 1-line block ×3, first 2 shown]
	v_add_f64 v[64:65], v[4:5], v[8:9]
	v_add_f64 v[95:96], v[42:43], v[14:15]
	;; [unrolled: 1-line block ×3, first 2 shown]
	v_mul_f64 v[109:110], v[80:81], s[36:37]
	v_add_f64 v[150:151], v[168:169], v[129:130]
	v_fma_f64 v[129:130], v[66:67], s[10:11], v[137:138]
	v_mul_f64 v[168:169], v[80:81], s[18:19]
	v_add_f64 v[26:27], v[26:27], v[154:155]
	v_add_f64 v[105:106], v[115:116], v[105:106]
	;; [unrolled: 1-line block ×3, first 2 shown]
	v_fma_f64 v[123:124], v[84:85], s[16:17], v[117:118]
	v_fma_f64 v[117:118], v[84:85], s[16:17], -v[117:118]
	v_fma_f64 v[154:155], v[68:69], s[10:11], -v[162:163]
	v_add_f64 v[103:104], v[103:104], v[156:157]
	v_fma_f64 v[141:142], v[76:77], s[20:21], v[119:120]
	v_add_f64 v[125:126], v[131:132], v[125:126]
	v_fma_f64 v[131:132], v[74:75], s[30:31], v[133:134]
	v_mul_f64 v[115:116], v[70:71], s[4:5]
	v_fma_f64 v[133:134], v[74:75], s[28:29], v[133:134]
	v_fma_f64 v[156:157], v[84:85], s[4:5], v[135:136]
	v_fma_f64 v[137:138], v[66:67], s[10:11], -v[137:138]
	v_fma_f64 v[119:120], v[76:77], s[26:27], v[119:120]
	v_add_f64 v[129:130], v[129:130], v[158:159]
	v_fma_f64 v[158:159], v[60:61], s[4:5], -v[166:167]
	v_add_f64 v[26:27], v[123:124], v[26:27]
	v_add_f64 v[101:102], v[117:118], v[101:102]
	v_fma_f64 v[117:118], v[68:69], s[4:5], v[109:110]
	v_fma_f64 v[109:110], v[68:69], s[4:5], -v[109:110]
	v_add_f64 v[105:106], v[154:155], v[105:106]
	v_mul_f64 v[154:155], v[86:87], s[24:25]
	v_add_f64 v[141:142], v[141:142], v[160:161]
	v_mul_f64 v[123:124], v[78:79], s[12:13]
	v_add_f64 v[103:104], v[131:132], v[103:104]
	v_fma_f64 v[131:132], v[74:75], s[22:23], v[115:116]
	v_add_f64 v[125:126], v[133:134], v[125:126]
	v_fma_f64 v[133:134], v[72:73], s[22:23], v[121:122]
	v_fma_f64 v[121:122], v[72:73], s[36:37], v[121:122]
	;; [unrolled: 1-line block ×4, first 2 shown]
	v_add_f64 v[156:157], v[156:157], v[129:130]
	v_add_f64 v[129:130], v[6:7], -v[10:11]
	v_add_f64 v[26:27], v[117:118], v[26:27]
	v_fma_f64 v[117:118], v[68:69], s[12:13], v[168:169]
	v_add_f64 v[101:102], v[109:110], v[101:102]
	v_fma_f64 v[109:110], v[60:61], s[14:15], v[154:155]
	v_fma_f64 v[162:163], v[60:61], s[14:15], -v[154:155]
	v_add_f64 v[152:153], v[158:159], v[105:106]
	v_fma_f64 v[105:106], v[66:67], s[4:5], v[113:114]
	v_add_f64 v[131:132], v[131:132], v[141:142]
	v_mul_f64 v[141:142], v[82:83], s[16:17]
	v_add_f64 v[103:104], v[133:134], v[103:104]
	v_fma_f64 v[133:134], v[72:73], s[34:35], v[123:124]
	v_add_f64 v[121:122], v[121:122], v[125:126]
	v_fma_f64 v[125:126], v[62:63], s[0:1], v[139:140]
	v_fma_f64 v[139:140], v[62:63], s[24:25], v[139:140]
	v_add_f64 v[154:155], v[160:161], v[107:108]
	v_add_f64 v[107:108], v[137:138], v[127:128]
	v_fma_f64 v[127:128], v[76:77], s[36:37], v[111:112]
	v_add_f64 v[137:138], v[4:5], -v[8:9]
	v_fma_f64 v[113:114], v[66:67], s[4:5], -v[113:114]
	v_add_f64 v[66:67], v[40:41], v[12:13]
	v_fma_f64 v[123:124], v[72:73], s[18:19], v[123:124]
	v_fma_f64 v[76:77], v[76:77], s[22:23], v[111:112]
	v_mul_f64 v[111:112], v[86:87], s[20:21]
	v_mul_f64 v[70:71], v[129:130], s[20:21]
	v_add_f64 v[166:167], v[117:118], v[156:157]
	v_add_f64 v[117:118], v[42:43], -v[14:15]
	v_add_f64 v[156:157], v[109:110], v[26:27]
	v_fma_f64 v[26:27], v[84:85], s[4:5], -v[135:136]
	v_add_f64 v[109:110], v[119:120], v[170:171]
	v_add_f64 v[160:161], v[162:163], v[101:102]
	;; [unrolled: 1-line block ×3, first 2 shown]
	v_fma_f64 v[119:120], v[84:85], s[14:15], v[176:177]
	v_mul_f64 v[135:136], v[78:79], s[16:17]
	v_add_f64 v[131:132], v[133:134], v[131:132]
	v_fma_f64 v[133:134], v[62:63], s[30:31], v[141:142]
	v_add_f64 v[158:159], v[125:126], v[103:104]
	v_add_f64 v[162:163], v[139:140], v[121:122]
	v_mul_f64 v[121:122], v[80:81], s[28:29]
	v_add_f64 v[80:81], v[6:7], v[10:11]
	v_add_f64 v[103:104], v[127:128], v[164:165]
	v_fma_f64 v[127:128], v[74:75], s[0:1], v[178:179]
	v_add_f64 v[125:126], v[40:41], -v[12:13]
	v_mul_f64 v[105:106], v[137:138], s[20:21]
	v_add_f64 v[139:140], v[44:45], -v[20:21]
	v_add_f64 v[97:98], v[113:114], v[97:98]
	v_fma_f64 v[141:142], v[62:63], s[28:29], v[141:142]
	v_add_f64 v[24:25], v[76:77], v[24:25]
	v_fma_f64 v[76:77], v[60:61], s[10:11], v[111:112]
	s_mov_b32 s1, exec_lo
	v_add_f64 v[164:165], v[180:181], v[166:167]
	v_mul_f64 v[78:79], v[117:118], s[34:35]
	v_mul_f64 v[180:181], v[82:83], s[10:11]
	v_add_f64 v[26:27], v[26:27], v[107:108]
	v_fma_f64 v[107:108], v[68:69], s[12:13], -v[168:169]
	v_add_f64 v[115:116], v[115:116], v[109:110]
	v_add_f64 v[101:102], v[119:120], v[101:102]
	;; [unrolled: 1-line block ×3, first 2 shown]
	v_fma_f64 v[133:134], v[64:65], s[10:11], v[70:71]
	v_add_f64 v[131:132], v[46:47], -v[22:23]
	v_fma_f64 v[119:120], v[68:69], s[16:17], v[121:122]
	v_fma_f64 v[121:122], v[68:69], s[16:17], -v[121:122]
	v_add_f64 v[103:104], v[127:128], v[103:104]
	v_fma_f64 v[127:128], v[72:73], s[30:31], v[135:136]
	v_mul_f64 v[109:110], v[125:126], s[34:35]
	v_fma_f64 v[99:100], v[80:81], s[10:11], -v[105:106]
	v_fma_f64 v[135:136], v[72:73], s[28:29], v[135:136]
	v_fma_f64 v[113:114], v[66:67], s[12:13], v[78:79]
	v_add_f64 v[26:27], v[107:108], v[26:27]
	v_fma_f64 v[107:108], v[84:85], s[14:15], -v[176:177]
	v_add_f64 v[82:83], v[123:124], v[115:116]
	v_add_f64 v[84:85], v[46:47], v[22:23]
	v_add_f64 v[115:116], v[50:51], -v[30:31]
	v_fma_f64 v[123:124], v[60:61], s[16:17], -v[174:175]
	v_add_f64 v[176:177], v[52:53], v[16:17]
	v_add_f64 v[133:134], v[0:1], v[133:134]
	v_mul_f64 v[86:87], v[131:132], s[28:29]
	v_add_f64 v[101:102], v[119:120], v[101:102]
	v_add_f64 v[119:120], v[48:49], -v[28:29]
	v_add_f64 v[52:53], v[36:37], v[32:33]
	v_add_f64 v[103:104], v[127:128], v[103:104]
	v_fma_f64 v[127:128], v[74:75], s[24:25], v[178:179]
	v_add_f64 v[74:75], v[44:45], v[20:21]
	v_fma_f64 v[68:69], v[95:96], s[12:13], -v[109:110]
	v_add_f64 v[72:73], v[2:3], v[99:100]
	v_mul_f64 v[99:100], v[139:140], s[28:29]
	v_add_f64 v[178:179], v[54:55], v[18:19]
	v_add_f64 v[54:55], v[38:39], v[34:35]
	;; [unrolled: 1-line block ×3, first 2 shown]
	v_fma_f64 v[97:98], v[62:63], s[26:27], v[180:181]
	v_add_f64 v[170:171], v[141:142], v[82:83]
	v_mul_f64 v[141:142], v[137:138], s[24:25]
	v_add_f64 v[168:169], v[123:124], v[26:27]
	v_fma_f64 v[26:27], v[60:61], s[10:11], -v[111:112]
	v_add_f64 v[113:114], v[113:114], v[133:134]
	v_mul_f64 v[133:134], v[125:126], s[26:27]
	v_add_f64 v[172:173], v[76:77], v[101:102]
	v_mul_f64 v[76:77], v[115:116], s[36:37]
	v_mul_f64 v[82:83], v[119:120], s[36:37]
	v_add_f64 v[101:102], v[36:37], -v[32:33]
	v_mul_f64 v[123:124], v[139:140], s[36:37]
	v_add_f64 v[24:25], v[127:128], v[24:25]
	v_fma_f64 v[127:128], v[74:75], s[16:17], v[86:87]
	v_add_f64 v[16:17], v[68:69], v[72:73]
	v_fma_f64 v[18:19], v[84:85], s[16:17], -v[99:100]
	v_add_f64 v[68:69], v[48:49], v[28:29]
	v_add_f64 v[72:73], v[50:51], v[30:31]
	v_add_f64 v[107:108], v[121:122], v[107:108]
	v_add_f64 v[174:175], v[97:98], v[103:104]
	v_add_f64 v[97:98], v[38:39], -v[34:35]
	v_fma_f64 v[103:104], v[62:63], s[20:21], v[180:181]
	v_mul_f64 v[121:122], v[131:132], s[36:37]
	v_mul_f64 v[62:63], v[101:102], s[24:25]
	v_add_f64 v[24:25], v[135:136], v[24:25]
	v_add_f64 v[111:112], v[127:128], v[113:114]
	v_mul_f64 v[135:136], v[129:130], s[24:25]
	v_mul_f64 v[127:128], v[117:118], s[26:27]
	v_add_f64 v[16:17], v[18:19], v[16:17]
	v_fma_f64 v[18:19], v[68:69], s[4:5], v[76:77]
	v_fma_f64 v[113:114], v[72:73], s[4:5], -v[82:83]
	v_add_f64 v[180:181], v[26:27], v[107:108]
	v_mul_f64 v[60:61], v[97:98], s[24:25]
	v_fma_f64 v[26:27], v[54:55], s[14:15], -v[62:63]
	v_add_f64 v[182:183], v[103:104], v[24:25]
	v_fma_f64 v[103:104], v[95:96], s[10:11], -v[133:134]
	ds_store_b128 v91, v[148:151] offset:32
	ds_store_b128 v91, v[156:159] offset:48
	;; [unrolled: 1-line block ×9, first 2 shown]
	ds_store_b128 v91, v[176:179]
	ds_store_b128 v91, v[56:59] offset:16
	v_add_f64 v[18:19], v[18:19], v[111:112]
	v_add_f64 v[24:25], v[113:114], v[16:17]
	v_fma_f64 v[16:17], v[52:53], s[14:15], v[60:61]
	v_mul_f64 v[111:112], v[115:116], s[18:19]
	v_mul_f64 v[113:114], v[119:120], s[18:19]
	s_delay_alu instid0(VALU_DEP_3) | instskip(SKIP_3) | instid1(VALU_DEP_2)
	v_add_f64 v[16:17], v[16:17], v[18:19]
	v_add_f64 v[18:19], v[26:27], v[24:25]
	v_fma_f64 v[24:25], v[64:65], s[14:15], v[135:136]
	v_fma_f64 v[26:27], v[66:67], s[10:11], v[127:128]
	v_add_f64 v[24:25], v[0:1], v[24:25]
	s_delay_alu instid0(VALU_DEP_1) | instskip(SKIP_1) | instid1(VALU_DEP_1)
	v_add_f64 v[24:25], v[26:27], v[24:25]
	v_fma_f64 v[26:27], v[80:81], s[14:15], -v[141:142]
	v_add_f64 v[26:27], v[2:3], v[26:27]
	s_delay_alu instid0(VALU_DEP_1) | instskip(SKIP_1) | instid1(VALU_DEP_1)
	v_add_f64 v[26:27], v[103:104], v[26:27]
	v_fma_f64 v[103:104], v[74:75], s[4:5], v[121:122]
	v_add_f64 v[24:25], v[103:104], v[24:25]
	v_fma_f64 v[103:104], v[84:85], s[4:5], -v[123:124]
	s_delay_alu instid0(VALU_DEP_1) | instskip(SKIP_1) | instid1(VALU_DEP_1)
	v_add_f64 v[26:27], v[103:104], v[26:27]
	v_fma_f64 v[103:104], v[68:69], s[12:13], v[111:112]
	v_add_f64 v[24:25], v[103:104], v[24:25]
	v_fma_f64 v[103:104], v[72:73], s[12:13], -v[113:114]
	s_delay_alu instid0(VALU_DEP_1) | instskip(SKIP_1) | instid1(VALU_DEP_1)
	v_add_f64 v[26:27], v[103:104], v[26:27]
	v_mul_f64 v[103:104], v[97:98], s[28:29]
	v_fma_f64 v[107:108], v[52:53], s[16:17], v[103:104]
	s_delay_alu instid0(VALU_DEP_1) | instskip(SKIP_1) | instid1(VALU_DEP_1)
	v_add_f64 v[24:25], v[107:108], v[24:25]
	v_mul_f64 v[107:108], v[101:102], s[28:29]
	v_fma_f64 v[184:185], v[54:55], s[16:17], -v[107:108]
	s_delay_alu instid0(VALU_DEP_1)
	v_add_f64 v[26:27], v[184:185], v[26:27]
	v_cmpx_gt_u32_e32 40, v90
	s_cbranch_execz .LBB0_15
; %bb.14:
	v_add_f64 v[6:7], v[2:3], v[6:7]
	v_add_f64 v[4:5], v[0:1], v[4:5]
	v_mul_f64 v[56:57], v[80:81], s[10:11]
	v_mul_f64 v[144:145], v[137:138], s[30:31]
	;; [unrolled: 1-line block ×28, first 2 shown]
	v_add_f64 v[6:7], v[6:7], v[42:43]
	v_add_f64 v[4:5], v[4:5], v[40:41]
	v_mul_f64 v[40:41], v[80:81], s[14:15]
	v_mul_f64 v[42:43], v[137:138], s[18:19]
	;; [unrolled: 1-line block ×3, first 2 shown]
	v_add_f64 v[56:57], v[105:106], v[56:57]
	v_fma_f64 v[105:106], v[80:81], s[16:17], -v[144:145]
	v_add_f64 v[58:59], v[58:59], -v[70:71]
	v_fma_f64 v[70:71], v[80:81], s[16:17], v[144:145]
	v_fma_f64 v[144:145], v[64:65], s[16:17], -v[146:147]
	v_add_f64 v[127:128], v[154:155], -v[127:128]
	v_add_f64 v[109:110], v[109:110], v[160:161]
	v_add_f64 v[78:79], v[158:159], -v[78:79]
	v_fma_f64 v[154:155], v[95:96], s[14:15], -v[164:165]
	v_fma_f64 v[158:159], v[95:96], s[14:15], v[164:165]
	v_fma_f64 v[160:161], v[66:67], s[14:15], v[170:171]
	v_fma_f64 v[164:165], v[66:67], s[14:15], -v[170:171]
	v_add_f64 v[123:124], v[123:124], v[148:149]
	v_add_f64 v[121:122], v[152:153], -v[121:122]
	v_add_f64 v[99:100], v[99:100], v[156:157]
	v_fma_f64 v[148:149], v[84:85], s[14:15], v[162:163]
	v_add_f64 v[86:87], v[166:167], -v[86:87]
	v_fma_f64 v[152:153], v[84:85], s[14:15], -v[162:163]
	v_fma_f64 v[156:157], v[84:85], s[12:13], v[168:169]
	v_fma_f64 v[162:163], v[84:85], s[12:13], -v[168:169]
	v_fma_f64 v[166:167], v[84:85], s[10:11], v[139:140]
	v_fma_f64 v[84:85], v[84:85], s[10:11], -v[139:140]
	v_fma_f64 v[139:140], v[74:75], s[14:15], -v[172:173]
	v_fma_f64 v[168:169], v[74:75], s[14:15], v[172:173]
	v_fma_f64 v[172:173], v[74:75], s[12:13], -v[174:175]
	v_fma_f64 v[174:175], v[74:75], s[12:13], v[174:175]
	v_add_f64 v[111:112], v[186:187], -v[111:112]
	v_add_f64 v[82:83], v[82:83], v[184:185]
	v_add_f64 v[76:77], v[176:177], -v[76:77]
	v_add_f64 v[6:7], v[6:7], v[46:47]
	v_add_f64 v[4:5], v[4:5], v[44:45]
	v_mul_f64 v[44:45], v[64:65], s[14:15]
	v_mul_f64 v[46:47], v[129:130], s[18:19]
	;; [unrolled: 1-line block ×3, first 2 shown]
	v_add_f64 v[40:41], v[141:142], v[40:41]
	v_fma_f64 v[141:142], v[80:81], s[12:13], v[42:43]
	v_fma_f64 v[42:43], v[80:81], s[12:13], -v[42:43]
	v_add_f64 v[105:106], v[2:3], v[105:106]
	v_add_f64 v[56:57], v[2:3], v[56:57]
	;; [unrolled: 1-line block ×7, first 2 shown]
	v_mul_f64 v[48:49], v[125:126], s[22:23]
	v_mul_f64 v[50:51], v[117:118], s[22:23]
	;; [unrolled: 1-line block ×4, first 2 shown]
	v_fma_f64 v[190:191], v[64:65], s[12:13], -v[46:47]
	v_fma_f64 v[46:47], v[64:65], s[12:13], v[46:47]
	v_add_f64 v[44:45], v[44:45], -v[135:136]
	v_fma_f64 v[135:136], v[64:65], s[16:17], v[146:147]
	v_fma_f64 v[146:147], v[80:81], s[4:5], v[137:138]
	v_fma_f64 v[80:81], v[80:81], s[4:5], -v[137:138]
	v_fma_f64 v[137:138], v[64:65], s[4:5], v[129:130]
	v_add_f64 v[42:43], v[2:3], v[42:43]
	v_add_f64 v[40:41], v[2:3], v[40:41]
	;; [unrolled: 1-line block ×6, first 2 shown]
	v_fma_f64 v[109:110], v[68:69], s[16:17], -v[180:181]
	v_add_f64 v[6:7], v[6:7], v[38:39]
	v_add_f64 v[4:5], v[4:5], v[36:37]
	v_fma_f64 v[36:37], v[64:65], s[4:5], -v[129:130]
	v_add_f64 v[129:130], v[133:134], v[150:151]
	v_fma_f64 v[133:134], v[95:96], s[4:5], v[48:49]
	v_fma_f64 v[150:151], v[66:67], s[4:5], -v[50:51]
	v_fma_f64 v[48:49], v[95:96], s[4:5], -v[48:49]
	v_fma_f64 v[50:51], v[66:67], s[4:5], v[50:51]
	v_fma_f64 v[170:171], v[95:96], s[16:17], v[125:126]
	v_fma_f64 v[95:96], v[95:96], s[16:17], -v[125:126]
	v_fma_f64 v[125:126], v[66:67], s[16:17], -v[117:118]
	v_fma_f64 v[66:67], v[66:67], s[16:17], v[117:118]
	v_add_f64 v[117:118], v[2:3], v[141:142]
	v_add_f64 v[141:142], v[0:1], v[190:191]
	;; [unrolled: 1-line block ×8, first 2 shown]
	v_mul_f64 v[38:39], v[119:120], s[24:25]
	v_mul_f64 v[64:65], v[115:116], s[24:25]
	v_fma_f64 v[190:191], v[74:75], s[10:11], -v[131:132]
	v_fma_f64 v[74:75], v[74:75], s[10:11], v[131:132]
	v_mul_f64 v[137:138], v[97:98], s[20:21]
	v_mul_f64 v[115:116], v[52:53], s[14:15]
	;; [unrolled: 1-line block ×3, first 2 shown]
	v_add_f64 v[56:57], v[99:100], v[56:57]
	v_add_f64 v[58:59], v[86:87], v[58:59]
	;; [unrolled: 1-line block ×8, first 2 shown]
	v_mul_f64 v[32:33], v[52:53], s[16:17]
	v_mul_f64 v[36:37], v[101:102], s[20:21]
	v_add_f64 v[42:43], v[48:49], v[42:43]
	v_add_f64 v[48:49], v[154:155], v[105:106]
	v_fma_f64 v[129:130], v[68:69], s[10:11], -v[192:193]
	v_mul_f64 v[34:35], v[54:55], s[16:17]
	v_add_f64 v[117:118], v[133:134], v[117:118]
	v_add_f64 v[131:132], v[150:151], v[141:142]
	;; [unrolled: 1-line block ×8, first 2 shown]
	v_mul_f64 v[80:81], v[101:102], s[18:19]
	v_mul_f64 v[95:96], v[97:98], s[18:19]
	v_fma_f64 v[127:128], v[72:73], s[10:11], v[188:189]
	v_fma_f64 v[133:134], v[72:73], s[10:11], -v[188:189]
	v_fma_f64 v[135:136], v[68:69], s[10:11], v[192:193]
	v_fma_f64 v[141:142], v[72:73], s[14:15], v[38:39]
	v_fma_f64 v[38:39], v[72:73], s[14:15], -v[38:39]
	v_add_f64 v[62:63], v[62:63], v[119:120]
	v_add_f64 v[60:61], v[115:116], -v[60:61]
	v_add_f64 v[56:57], v[82:83], v[56:57]
	v_add_f64 v[58:59], v[76:77], v[58:59]
	;; [unrolled: 1-line block ×5, first 2 shown]
	v_mul_f64 v[28:29], v[101:102], s[22:23]
	v_mul_f64 v[30:31], v[97:98], s[22:23]
	v_fma_f64 v[97:98], v[72:73], s[16:17], v[178:179]
	v_add_f64 v[101:102], v[113:114], v[182:183]
	v_fma_f64 v[113:114], v[72:73], s[16:17], -v[178:179]
	v_fma_f64 v[125:126], v[68:69], s[16:17], v[180:181]
	v_fma_f64 v[72:73], v[68:69], s[14:15], -v[64:65]
	v_fma_f64 v[64:65], v[68:69], s[14:15], v[64:65]
	v_add_f64 v[48:49], v[162:163], v[48:49]
	v_add_f64 v[68:69], v[148:149], v[117:118]
	;; [unrolled: 1-line block ×11, first 2 shown]
	v_add_f64 v[32:33], v[32:33], -v[103:104]
	v_fma_f64 v[103:104], v[54:55], s[12:13], v[80:81]
	v_fma_f64 v[74:75], v[52:53], s[10:11], v[137:138]
	v_add_f64 v[34:35], v[107:108], v[34:35]
	v_add_f64 v[70:71], v[127:128], v[70:71]
	;; [unrolled: 1-line block ×3, first 2 shown]
	v_fma_f64 v[105:106], v[52:53], s[12:13], -v[95:96]
	v_add_f64 v[6:7], v[6:7], v[22:23]
	v_add_f64 v[4:5], v[4:5], v[20:21]
	;; [unrolled: 1-line block ×3, first 2 shown]
	v_fma_f64 v[20:21], v[54:55], s[10:11], v[36:37]
	v_fma_f64 v[22:23], v[52:53], s[10:11], -v[137:138]
	v_fma_f64 v[36:37], v[54:55], s[10:11], -v[36:37]
	v_fma_f64 v[84:85], v[54:55], s[4:5], v[28:29]
	v_fma_f64 v[99:100], v[52:53], s[4:5], -v[30:31]
	v_fma_f64 v[28:29], v[54:55], s[4:5], -v[28:29]
	v_fma_f64 v[30:31], v[52:53], s[4:5], v[30:31]
	v_fma_f64 v[54:55], v[54:55], s[12:13], -v[80:81]
	v_add_f64 v[48:49], v[133:134], v[48:49]
	v_add_f64 v[68:69], v[97:98], v[68:69]
	;; [unrolled: 1-line block ×8, first 2 shown]
	v_fma_f64 v[52:53], v[52:53], s[12:13], v[95:96]
	v_add_f64 v[82:83], v[38:39], v[2:3]
	v_add_f64 v[64:65], v[64:65], v[66:67]
	;; [unrolled: 1-line block ×21, first 2 shown]
	v_mad_i32_i24 v44, 0xb0, v94, 0
	v_add_f64 v[10:11], v[66:67], v[10:11]
	v_add_f64 v[8:9], v[86:87], v[8:9]
	;; [unrolled: 1-line block ×3, first 2 shown]
	ds_store_b128 v44, v[16:19] offset:48
	ds_store_b128 v44, v[20:23] offset:32
	;; [unrolled: 1-line block ×9, first 2 shown]
	ds_store_b128 v44, v[8:11]
	ds_store_b128 v44, v[36:39] offset:160
.LBB0_15:
	s_or_b32 exec_lo, exec_lo, s1
	s_waitcnt lgkmcnt(0)
	s_barrier
	buffer_gl0_inv
	v_lshl_add_u32 v127, v94, 4, 0
	ds_load_b128 v[36:39], v143 offset:13200
	ds_load_b128 v[40:43], v143 offset:14960
	ds_load_b128 v[20:23], v143
	ds_load_b128 v[4:7], v143 offset:3520
	ds_load_b128 v[44:47], v143 offset:16720
	;; [unrolled: 1-line block ×9, first 2 shown]
	ds_load_b128 v[32:35], v127
	ds_load_b128 v[60:63], v143 offset:23760
	v_cmp_gt_u32_e64 s0, 55, v90
	s_delay_alu instid0(VALU_DEP_1)
	s_and_saveexec_b32 s1, s0
	s_cbranch_execz .LBB0_17
; %bb.16:
	ds_load_b128 v[16:19], v143 offset:12320
	ds_load_b128 v[24:27], v143 offset:25520
.LBB0_17:
	s_or_b32 exec_lo, exec_lo, s1
	v_and_b32_e32 v65, 0xff, v90
	v_and_b32_e32 v64, 0xff, v94
	v_add_nc_u32_e32 v66, 0x14a, v90
	v_add_nc_u32_e32 v67, 0x1b8, v90
	;; [unrolled: 1-line block ×3, first 2 shown]
	v_mul_lo_u16 v68, 0x75, v65
	v_mul_lo_u16 v69, 0x75, v64
	v_add_nc_u32_e32 v71, 0x226, v90
	v_and_b32_e32 v75, 0xffff, v67
	v_and_b32_e32 v65, 0xffff, v91
	v_lshrrev_b16 v73, 8, v68
	v_lshrrev_b16 v74, 8, v69
	v_and_b32_e32 v68, 0xffff, v66
	v_add_nc_u32_e32 v72, 0x294, v90
	v_and_b32_e32 v76, 0xffff, v71
	v_sub_nc_u16 v77, v90, v73
	v_sub_nc_u16 v79, v94, v74
	v_mul_u32_u24_e32 v69, 0xba2f, v68
	v_mul_u32_u24_e32 v68, 0xba2f, v75
	v_mul_u32_u24_e32 v70, 0xba2f, v65
	v_lshrrev_b16 v77, 1, v77
	v_lshrrev_b16 v75, 1, v79
	v_and_b32_e32 v78, 0xffff, v72
	v_mul_u32_u24_e32 v76, 0xba2f, v76
	v_lshrrev_b32_e32 v87, 19, v70
	v_and_b32_e32 v77, 0x7f, v77
	v_and_b32_e32 v75, 0x7f, v75
	v_mul_u32_u24_e32 v78, 0xba2f, v78
	v_lshrrev_b32_e32 v123, 19, v76
	v_lshrrev_b32_e32 v121, 19, v69
	v_add_nc_u16 v73, v77, v73
	v_add_nc_u16 v74, v75, v74
	v_lshrrev_b32_e32 v122, 19, v68
	v_mul_lo_u16 v75, v87, 11
	v_lshrrev_b32_e32 v124, 19, v78
	v_lshrrev_b16 v125, 3, v73
	v_lshrrev_b16 v126, 3, v74
	v_mul_lo_u16 v76, v123, 11
	v_mul_lo_u16 v73, v121, 11
	;; [unrolled: 1-line block ×5, first 2 shown]
	v_sub_nc_u16 v75, v91, v75
	v_mul_lo_u16 v78, v124, 11
	v_sub_nc_u16 v71, v71, v76
	v_sub_nc_u16 v77, v90, v77
	;; [unrolled: 1-line block ×5, first 2 shown]
	v_and_b32_e32 v75, 0xffff, v75
	v_and_b32_e32 v76, 0xff, v77
	;; [unrolled: 1-line block ×3, first 2 shown]
	v_sub_nc_u16 v72, v72, v78
	v_and_b32_e32 v78, 0xffff, v73
	v_and_b32_e32 v79, 0xffff, v74
	v_lshlrev_b32_e32 v128, 4, v76
	v_lshlrev_b32_e32 v129, 4, v77
	v_lshlrev_b32_e32 v130, 4, v75
	v_and_b32_e32 v83, 0xffff, v71
	v_and_b32_e32 v95, 0xffff, v72
	global_load_b128 v[71:74], v128, s[8:9]
	v_lshlrev_b32_e32 v131, 4, v78
	global_load_b128 v[75:78], v129, s[8:9]
	v_lshlrev_b32_e32 v132, 4, v79
	;; [unrolled: 2-line block ×4, first 2 shown]
	s_clause 0x2
	global_load_b128 v[95:98], v132, s[8:9]
	global_load_b128 v[99:102], v133, s[8:9]
	;; [unrolled: 1-line block ×3, first 2 shown]
	s_waitcnt vmcnt(0) lgkmcnt(0)
	s_barrier
	buffer_gl0_inv
	v_mul_f64 v[107:108], v[38:39], v[73:74]
	v_mul_f64 v[73:74], v[36:37], v[73:74]
	;; [unrolled: 1-line block ×14, first 2 shown]
	v_fma_f64 v[36:37], v[36:37], v[71:72], v[107:108]
	v_fma_f64 v[38:39], v[38:39], v[71:72], -v[73:74]
	v_fma_f64 v[40:41], v[40:41], v[75:76], v[109:110]
	v_fma_f64 v[42:43], v[42:43], v[75:76], -v[77:78]
	;; [unrolled: 2-line block ×7, first 2 shown]
	v_and_b32_e32 v75, 0xffff, v125
	v_and_b32_e32 v77, 0xffff, v126
	v_mul_u32_u24_e32 v71, 0x160, v87
	v_mul_u32_u24_e32 v72, 0x160, v121
	;; [unrolled: 1-line block ×7, first 2 shown]
	v_add3_u32 v71, 0, v71, v130
	v_add3_u32 v75, 0, v75, v128
	v_add3_u32 v77, 0, v77, v129
	v_add3_u32 v72, 0, v72, v131
	v_add3_u32 v73, 0, v73, v132
	v_add3_u32 v74, 0, v74, v133
	v_add3_u32 v76, 0, v76, v134
	v_add_f64 v[36:37], v[20:21], -v[36:37]
	v_add_f64 v[38:39], v[22:23], -v[38:39]
	;; [unrolled: 1-line block ×14, first 2 shown]
	v_fma_f64 v[20:21], v[20:21], 2.0, -v[36:37]
	v_fma_f64 v[22:23], v[22:23], 2.0, -v[38:39]
	;; [unrolled: 1-line block ×14, first 2 shown]
	ds_store_b128 v75, v[20:23]
	ds_store_b128 v75, v[36:39] offset:176
	ds_store_b128 v77, v[32:35]
	ds_store_b128 v77, v[40:43] offset:176
	;; [unrolled: 2-line block ×7, first 2 shown]
	s_and_saveexec_b32 s1, s0
	s_cbranch_execz .LBB0_19
; %bb.18:
	v_add_nc_u32_e32 v0, 0x302, v90
	s_delay_alu instid0(VALU_DEP_1) | instskip(NEXT) | instid1(VALU_DEP_1)
	v_and_b32_e32 v1, 0xffff, v0
	v_mul_u32_u24_e32 v1, 0xba2f, v1
	s_delay_alu instid0(VALU_DEP_1) | instskip(NEXT) | instid1(VALU_DEP_1)
	v_lshrrev_b32_e32 v8, 19, v1
	v_mul_lo_u16 v1, v8, 11
	v_mul_lo_u16 v8, v8, 22
	s_delay_alu instid0(VALU_DEP_2) | instskip(NEXT) | instid1(VALU_DEP_2)
	v_sub_nc_u16 v0, v0, v1
	v_and_b32_e32 v8, 0xffff, v8
	s_delay_alu instid0(VALU_DEP_2) | instskip(NEXT) | instid1(VALU_DEP_2)
	v_and_b32_e32 v0, 0xffff, v0
	v_lshlrev_b32_e32 v8, 4, v8
	s_delay_alu instid0(VALU_DEP_2)
	v_lshlrev_b32_e32 v9, 4, v0
	global_load_b128 v[0:3], v9, s[8:9]
	v_add3_u32 v8, 0, v9, v8
	s_waitcnt vmcnt(0)
	v_mul_f64 v[4:5], v[24:25], v[2:3]
	v_mul_f64 v[2:3], v[26:27], v[2:3]
	s_delay_alu instid0(VALU_DEP_2) | instskip(NEXT) | instid1(VALU_DEP_2)
	v_fma_f64 v[4:5], v[26:27], v[0:1], -v[4:5]
	v_fma_f64 v[0:1], v[24:25], v[0:1], v[2:3]
	s_delay_alu instid0(VALU_DEP_2) | instskip(NEXT) | instid1(VALU_DEP_2)
	v_add_f64 v[2:3], v[18:19], -v[4:5]
	v_add_f64 v[0:1], v[16:17], -v[0:1]
	s_delay_alu instid0(VALU_DEP_2) | instskip(NEXT) | instid1(VALU_DEP_2)
	v_fma_f64 v[6:7], v[18:19], 2.0, -v[2:3]
	v_fma_f64 v[4:5], v[16:17], 2.0, -v[0:1]
	ds_store_b128 v8, v[4:7]
	ds_store_b128 v8, v[0:3] offset:176
.LBB0_19:
	s_or_b32 exec_lo, exec_lo, s1
	v_lshrrev_b16 v0, 1, v90
	v_lshrrev_b16 v1, 1, v64
	v_lshrrev_b32_e32 v51, 20, v70
	v_lshrrev_b32_e32 v47, 20, v69
	;; [unrolled: 1-line block ×3, first 2 shown]
	v_and_b32_e32 v0, 0x7f, v0
	v_mul_lo_u16 v1, 0xbb, v1
	s_waitcnt lgkmcnt(0)
	s_barrier
	v_mul_lo_u16 v3, v50, 22
	v_mul_lo_u16 v0, 0xbb, v0
	v_lshrrev_b16 v43, 11, v1
	v_mul_lo_u16 v1, v51, 22
	buffer_gl0_inv
	v_sub_nc_u16 v9, v67, v3
	v_lshrrev_b16 v42, 11, v0
	v_mul_lo_u16 v0, v43, 22
	v_sub_nc_u16 v1, v91, v1
	s_mov_b32 s4, 0xe8584caa
	v_and_b32_e32 v49, 0xffff, v9
	v_mul_lo_u16 v2, v42, 22
	v_sub_nc_u16 v0, v94, v0
	v_and_b32_e32 v45, 0xffff, v1
	s_mov_b32 s5, 0xbfebb67a
	v_lshlrev_b32_e32 v9, 5, v49
	v_sub_nc_u16 v1, v90, v2
	v_and_b32_e32 v44, 0xff, v0
	v_mul_lo_u16 v2, v47, 22
	v_lshlrev_b32_e32 v4, 5, v45
	s_mov_b32 s11, 0x3febb67a
	v_and_b32_e32 v46, 0xff, v1
	v_lshlrev_b32_e32 v14, 5, v44
	v_sub_nc_u16 v8, v66, v2
	s_clause 0x1
	global_load_b128 v[0:3], v4, s[8:9] offset:176
	global_load_b128 v[4:7], v4, s[8:9] offset:192
	v_lshlrev_b32_e32 v22, 5, v46
	s_mov_b32 s10, s4
	v_and_b32_e32 v48, 0xffff, v8
	s_clause 0x3
	global_load_b128 v[10:13], v14, s[8:9] offset:176
	global_load_b128 v[14:17], v14, s[8:9] offset:192
	;; [unrolled: 1-line block ×4, first 2 shown]
	v_cmp_gt_u32_e64 s1, 0x42, v90
	v_and_b32_e32 v43, 0xffff, v43
	v_lshlrev_b32_e32 v44, 4, v44
	v_lshlrev_b32_e32 v8, 5, v48
	v_mul_u32_u24_e32 v47, 0x420, v47
	s_mov_b32 s14, 0x134454ff
	s_clause 0x3
	global_load_b128 v[26:29], v8, s[8:9] offset:176
	global_load_b128 v[30:33], v8, s[8:9] offset:192
	;; [unrolled: 1-line block ×4, first 2 shown]
	ds_load_b128 v[34:37], v143 offset:12320
	ds_load_b128 v[38:41], v143 offset:21120
	;; [unrolled: 1-line block ×10, first 2 shown]
	s_mov_b32 s15, 0xbfee6f0e
	s_mov_b32 s17, 0x3fee6f0e
	s_mov_b32 s16, s14
	s_mov_b32 s13, 0x3fe2cf23
	s_waitcnt vmcnt(9) lgkmcnt(9)
	v_mul_f64 v[8:9], v[36:37], v[2:3]
	v_mul_f64 v[2:3], v[34:35], v[2:3]
	s_waitcnt vmcnt(8) lgkmcnt(8)
	v_mul_f64 v[86:87], v[40:41], v[6:7]
	v_mul_f64 v[103:104], v[38:39], v[6:7]
	s_waitcnt vmcnt(7) lgkmcnt(7)
	v_mul_f64 v[105:106], v[62:63], v[12:13]
	s_waitcnt vmcnt(6) lgkmcnt(6)
	;; [unrolled: 2-line block ×4, first 2 shown]
	v_mul_f64 v[111:112], v[76:77], v[24:25]
	v_mul_f64 v[113:114], v[70:71], v[20:21]
	;; [unrolled: 1-line block ×5, first 2 shown]
	s_waitcnt vmcnt(3) lgkmcnt(3)
	v_mul_f64 v[115:116], v[80:81], v[28:29]
	s_waitcnt vmcnt(2) lgkmcnt(2)
	v_mul_f64 v[117:118], v[84:85], v[32:33]
	v_mul_f64 v[119:120], v[78:79], v[28:29]
	v_mul_f64 v[121:122], v[82:83], v[32:33]
	s_waitcnt vmcnt(1) lgkmcnt(1)
	v_mul_f64 v[123:124], v[97:98], v[54:55]
	s_waitcnt vmcnt(0) lgkmcnt(0)
	v_mul_f64 v[125:126], v[101:102], v[58:59]
	v_mul_f64 v[54:55], v[95:96], v[54:55]
	;; [unrolled: 1-line block ×3, first 2 shown]
	v_fma_f64 v[34:35], v[34:35], v[0:1], v[8:9]
	v_fma_f64 v[36:37], v[36:37], v[0:1], -v[2:3]
	v_fma_f64 v[6:7], v[38:39], v[4:5], v[86:87]
	v_fma_f64 v[8:9], v[40:41], v[4:5], -v[103:104]
	v_fma_f64 v[20:21], v[60:61], v[10:11], v[105:106]
	v_fma_f64 v[2:3], v[66:67], v[14:15], v[107:108]
	;; [unrolled: 1-line block ×4, first 2 shown]
	v_fma_f64 v[32:33], v[72:73], v[18:19], -v[113:114]
	v_fma_f64 v[4:5], v[76:77], v[22:23], -v[24:25]
	;; [unrolled: 1-line block ×4, first 2 shown]
	v_fma_f64 v[22:23], v[78:79], v[26:27], v[115:116]
	v_fma_f64 v[12:13], v[82:83], v[30:31], v[117:118]
	v_fma_f64 v[26:27], v[80:81], v[26:27], -v[119:120]
	v_fma_f64 v[14:15], v[84:85], v[30:31], -v[121:122]
	v_fma_f64 v[24:25], v[95:96], v[52:53], v[123:124]
	v_mov_b32_e32 v96, 0
	v_fma_f64 v[16:17], v[99:100], v[56:57], v[125:126]
	v_fma_f64 v[30:31], v[97:98], v[52:53], -v[54:55]
	v_fma_f64 v[18:19], v[101:102], v[56:57], -v[58:59]
	ds_load_b128 v[52:55], v143 offset:3520
	ds_load_b128 v[56:59], v143 offset:5280
	;; [unrolled: 1-line block ×3, first 2 shown]
	ds_load_b128 v[66:69], v127
	ds_load_b128 v[70:73], v143
	v_mul_lo_u16 v121, 0xf9, v64
	v_mul_u32_u24_e32 v122, 0xf83f, v65
	v_mul_u32_u24_e32 v123, 0x420, v51
	v_add_nc_u32_e32 v95, 0xffffffbe, v90
	s_waitcnt lgkmcnt(0)
	v_lshrrev_b16 v129, 14, v121
	v_mul_u32_u24_e32 v121, 0x420, v50
	v_lshrrev_b32_e32 v130, 22, v122
	v_cndmask_b32_e64 v128, v95, v90, s1
	s_barrier
	v_mul_lo_u16 v122, 0x42, v129
	buffer_gl0_inv
	v_mul_lo_u16 v124, 0x42, v130
	v_lshlrev_b32_e32 v95, 2, v128
	v_mul_u32_u24_e32 v142, 0x14a0, v130
	v_add_f64 v[40:41], v[34:35], v[6:7]
	v_add_f64 v[74:75], v[36:37], v[8:9]
	;; [unrolled: 1-line block ×10, first 2 shown]
	v_add_f64 v[101:102], v[36:37], -v[8:9]
	v_add_f64 v[84:85], v[22:23], v[12:13]
	v_add_f64 v[36:37], v[54:55], v[36:37]
	;; [unrolled: 1-line block ×3, first 2 shown]
	v_add_f64 v[113:114], v[38:39], -v[10:11]
	v_add_f64 v[38:39], v[68:69], v[38:39]
	v_add_f64 v[97:98], v[24:25], v[16:17]
	v_add_f64 v[119:120], v[32:33], -v[4:5]
	v_add_f64 v[99:100], v[30:31], v[18:19]
	v_add_f64 v[103:104], v[34:35], -v[6:7]
	v_add_f64 v[34:35], v[56:57], v[22:23]
	v_add_f64 v[105:106], v[58:59], v[26:27]
	;; [unrolled: 1-line block ×4, first 2 shown]
	v_fma_f64 v[32:33], v[40:41], -0.5, v[52:53]
	v_add_f64 v[40:41], v[28:29], -v[0:1]
	v_fma_f64 v[74:75], v[74:75], -0.5, v[54:55]
	v_fma_f64 v[54:55], v[76:77], -0.5, v[66:67]
	v_add_f64 v[0:1], v[115:116], v[0:1]
	v_fma_f64 v[52:53], v[78:79], -0.5, v[70:71]
	v_add_f64 v[70:71], v[20:21], -v[2:3]
	v_fma_f64 v[66:67], v[80:81], -0.5, v[72:73]
	v_add_f64 v[72:73], v[26:27], -v[14:15]
	;; [unrolled: 2-line block ×5, first 2 shown]
	v_add_f64 v[20:21], v[111:112], v[2:3]
	v_fma_f64 v[84:85], v[97:98], -0.5, v[60:61]
	v_add_f64 v[2:3], v[117:118], v[4:5]
	v_fma_f64 v[97:98], v[99:100], -0.5, v[62:63]
	v_add_f64 v[8:9], v[36:37], v[8:9]
	v_add_f64 v[22:23], v[38:39], v[10:11]
	;; [unrolled: 1-line block ×7, first 2 shown]
	v_and_b32_e32 v11, 0xffff, v42
	v_lshlrev_b64 v[99:100], 4, v[95:96]
	v_sub_nc_u16 v4, v94, v122
	v_lshlrev_b32_e32 v42, 4, v48
	v_sub_nc_u16 v10, v91, v124
	v_mul_u32_u24_e32 v11, 0x420, v11
	v_lshlrev_b32_e32 v95, 2, v90
	v_and_b32_e32 v131, 0xff, v4
	v_add_co_u32 v4, s1, s8, v99
	s_delay_alu instid0(VALU_DEP_1)
	v_add_co_ci_u32_e64 v5, s1, s9, v100, s1
	v_fma_f64 v[24:25], v[101:102], s[4:5], v[32:33]
	v_fma_f64 v[28:29], v[101:102], s[10:11], v[32:33]
	;; [unrolled: 1-line block ×20, first 2 shown]
	v_lshlrev_b32_e32 v41, 4, v45
	v_lshlrev_b32_e32 v45, 4, v46
	v_mul_u32_u24_e32 v40, 0x420, v43
	v_lshlrev_b32_e32 v43, 4, v49
	v_add3_u32 v42, 0, v47, v42
	v_add3_u32 v41, 0, v123, v41
	;; [unrolled: 1-line block ×5, first 2 shown]
	v_and_b32_e32 v132, 0xffff, v10
	v_cmp_lt_u32_e64 s1, 0x41, v90
	v_lshlrev_b32_e32 v166, 4, v131
	s_mov_b32 s10, 0x4755a5e
	s_mov_b32 s11, 0xbfe2cf23
	;; [unrolled: 1-line block ×3, first 2 shown]
	v_cndmask_b32_e64 v133, 0, 0x14a0, s1
	s_mov_b32 s4, 0x372fe950
	s_mov_b32 s5, 0x3fd3c6ef
	ds_store_b128 v11, v[0:3]
	ds_store_b128 v11, v[36:39] offset:352
	ds_store_b128 v11, v[50:53] offset:704
	ds_store_b128 v40, v[20:23]
	ds_store_b128 v40, v[32:35] offset:352
	ds_store_b128 v40, v[54:57] offset:704
	ds_store_b128 v41, v[6:9]
	ds_store_b128 v41, v[24:27] offset:352
	ds_store_b128 v41, v[28:31] offset:704
	ds_store_b128 v42, v[12:15]
	ds_store_b128 v42, v[58:61] offset:352
	ds_store_b128 v42, v[62:65] offset:704
	ds_store_b128 v43, v[16:19]
	ds_store_b128 v43, v[66:69] offset:352
	ds_store_b128 v43, v[70:73] offset:704
	s_waitcnt lgkmcnt(0)
	s_barrier
	buffer_gl0_inv
	global_load_b128 v[134:137], v[4:5], off offset:880
	v_lshlrev_b32_e32 v6, 6, v131
	s_clause 0x5
	global_load_b128 v[20:23], v[4:5], off offset:896
	global_load_b128 v[16:19], v[4:5], off offset:912
	;; [unrolled: 1-line block ×3, first 2 shown]
	global_load_b128 v[0:3], v6, s[8:9] offset:880
	global_load_b128 v[12:15], v6, s[8:9] offset:896
	global_load_b128 v[8:11], v6, s[8:9] offset:912
	v_lshlrev_b32_e32 v28, 6, v132
	s_clause 0x4
	global_load_b128 v[4:7], v6, s[8:9] offset:928
	global_load_b128 v[40:43], v28, s[8:9] offset:896
	;; [unrolled: 1-line block ×5, first 2 shown]
	ds_load_b128 v[138:141], v143 offset:5280
	ds_load_b128 v[48:51], v143 offset:10560
	;; [unrolled: 1-line block ×12, first 2 shown]
	s_waitcnt vmcnt(11) lgkmcnt(11)
	v_mul_f64 v[144:145], v[140:141], v[136:137]
	s_waitcnt vmcnt(10) lgkmcnt(10)
	v_mul_f64 v[97:98], v[50:51], v[22:23]
	;; [unrolled: 2-line block ×3, first 2 shown]
	v_mul_f64 v[99:100], v[48:49], v[22:23]
	v_mul_f64 v[103:104], v[44:45], v[18:19]
	;; [unrolled: 1-line block ×3, first 2 shown]
	s_waitcnt vmcnt(8) lgkmcnt(8)
	v_mul_f64 v[105:106], v[54:55], v[26:27]
	v_mul_f64 v[107:108], v[52:53], v[26:27]
	s_waitcnt vmcnt(6) lgkmcnt(7)
	v_mul_f64 v[22:23], v[78:79], v[14:15]
	s_waitcnt vmcnt(5) lgkmcnt(6)
	v_mul_f64 v[26:27], v[82:83], v[10:11]
	v_mul_f64 v[111:112], v[76:77], v[14:15]
	;; [unrolled: 1-line block ×3, first 2 shown]
	s_waitcnt lgkmcnt(5)
	v_mul_f64 v[18:19], v[74:75], v[2:3]
	s_waitcnt vmcnt(4) lgkmcnt(4)
	v_mul_f64 v[115:116], v[86:87], v[6:7]
	v_mul_f64 v[109:110], v[72:73], v[2:3]
	;; [unrolled: 1-line block ×3, first 2 shown]
	s_waitcnt vmcnt(3) lgkmcnt(3)
	v_mul_f64 v[119:120], v[66:67], v[42:43]
	s_waitcnt vmcnt(2) lgkmcnt(2)
	v_mul_f64 v[123:124], v[70:71], v[38:39]
	v_mul_f64 v[42:43], v[64:65], v[42:43]
	;; [unrolled: 1-line block ×3, first 2 shown]
	s_waitcnt vmcnt(1) lgkmcnt(1)
	v_mul_f64 v[121:122], v[58:59], v[34:35]
	s_waitcnt vmcnt(0) lgkmcnt(0)
	v_mul_f64 v[125:126], v[62:63], v[30:31]
	v_mul_f64 v[34:35], v[56:57], v[34:35]
	;; [unrolled: 1-line block ×3, first 2 shown]
	v_fma_f64 v[6:7], v[138:139], v[134:135], v[144:145]
	v_fma_f64 v[48:49], v[48:49], v[20:21], v[97:98]
	;; [unrolled: 1-line block ×3, first 2 shown]
	v_fma_f64 v[44:45], v[50:51], v[20:21], -v[99:100]
	v_fma_f64 v[20:21], v[46:47], v[16:17], -v[103:104]
	;; [unrolled: 1-line block ×3, first 2 shown]
	v_fma_f64 v[10:11], v[52:53], v[24:25], v[105:106]
	v_fma_f64 v[14:15], v[54:55], v[24:25], -v[107:108]
	v_fma_f64 v[46:47], v[76:77], v[12:13], v[22:23]
	v_fma_f64 v[22:23], v[80:81], v[8:9], v[26:27]
	v_fma_f64 v[52:53], v[78:79], v[12:13], -v[111:112]
	v_fma_f64 v[12:13], v[82:83], v[8:9], -v[113:114]
	v_fma_f64 v[50:51], v[72:73], v[0:1], v[18:19]
	v_fma_f64 v[16:17], v[84:85], v[4:5], v[115:116]
	v_fma_f64 v[54:55], v[74:75], v[0:1], -v[109:110]
	v_fma_f64 v[0:1], v[86:87], v[4:5], -v[117:118]
	v_fma_f64 v[64:65], v[64:65], v[40:41], v[119:120]
	v_fma_f64 v[18:19], v[68:69], v[36:37], v[123:124]
	v_fma_f64 v[40:41], v[66:67], v[40:41], -v[42:43]
	v_fma_f64 v[24:25], v[70:71], v[36:37], -v[38:39]
	v_fma_f64 v[56:57], v[56:57], v[32:33], v[121:122]
	v_fma_f64 v[4:5], v[60:61], v[28:29], v[125:126]
	v_fma_f64 v[42:43], v[58:59], v[32:33], -v[34:35]
	v_fma_f64 v[8:9], v[62:63], v[28:29], -v[146:147]
	v_lshlrev_b32_e32 v26, 4, v128
	v_and_b32_e32 v27, 0xffff, v129
	ds_load_b128 v[36:39], v143
	v_lshlrev_b64 v[58:59], 4, v[95:96]
	v_lshlrev_b32_e32 v95, 2, v94
	v_add3_u32 v164, 0, v133, v26
	v_mul_u32_u24_e32 v165, 0x14a0, v27
	ds_load_b128 v[26:29], v127
	ds_load_b128 v[32:35], v143 offset:3520
	s_waitcnt lgkmcnt(0)
	v_lshlrev_b64 v[62:63], 4, v[95:96]
	v_lshlrev_b32_e32 v95, 2, v91
	v_lshlrev_b32_e32 v91, 4, v132
	s_barrier
	buffer_gl0_inv
	v_add_f64 v[78:79], v[6:7], -v[48:49]
	v_add_f64 v[60:61], v[48:49], v[30:31]
	v_add_f64 v[86:87], v[48:49], -v[6:7]
	v_add_f64 v[72:73], v[44:45], v[20:21]
	;; [unrolled: 2-line block ×3, first 2 shown]
	v_add_f64 v[76:77], v[2:3], v[14:15]
	v_add_f64 v[66:67], v[36:37], v[6:7]
	v_add_f64 v[80:81], v[46:47], v[22:23]
	v_add_f64 v[103:104], v[38:39], v[2:3]
	v_add_f64 v[97:98], v[52:53], v[12:13]
	v_add_f64 v[70:71], v[2:3], -v[14:15]
	v_add_f64 v[84:85], v[50:51], v[16:17]
	v_add_f64 v[82:83], v[10:11], -v[30:31]
	v_add_f64 v[101:102], v[54:55], v[0:1]
	;; [unrolled: 2-line block ×6, first 2 shown]
	v_add_f64 v[121:122], v[26:27], v[50:51]
	v_add_f64 v[136:137], v[28:29], v[54:55]
	;; [unrolled: 1-line block ×4, first 2 shown]
	v_add_f64 v[74:75], v[44:45], -v[20:21]
	v_add_f64 v[109:110], v[48:49], -v[30:31]
	v_add_f64 v[117:118], v[14:15], -v[20:21]
	v_add_f64 v[123:124], v[54:55], -v[0:1]
	v_add_f64 v[128:129], v[50:51], -v[46:47]
	v_add_f64 v[132:133], v[46:47], -v[50:51]
	v_add_f64 v[50:51], v[50:51], -v[16:17]
	v_add_f64 v[125:126], v[52:53], -v[12:13]
	v_add_f64 v[138:139], v[46:47], -v[22:23]
	v_add_f64 v[148:149], v[42:43], -v[8:9]
	v_add_f64 v[152:153], v[56:57], -v[4:5]
	v_add_f64 v[146:147], v[54:55], -v[52:53]
	v_fma_f64 v[60:61], v[60:61], -0.5, v[36:37]
	v_add_f64 v[54:55], v[52:53], -v[54:55]
	v_fma_f64 v[72:73], v[72:73], -0.5, v[38:39]
	v_add_f64 v[150:151], v[56:57], -v[64:65]
	v_fma_f64 v[36:37], v[68:69], -0.5, v[36:37]
	v_fma_f64 v[38:39], v[76:77], -0.5, v[38:39]
	v_add_f64 v[48:49], v[66:67], v[48:49]
	v_fma_f64 v[80:81], v[80:81], -0.5, v[26:27]
	v_add_f64 v[44:45], v[103:104], v[44:45]
	v_fma_f64 v[97:98], v[97:98], -0.5, v[28:29]
	v_add_f64 v[56:57], v[64:65], -v[56:57]
	v_fma_f64 v[26:27], v[84:85], -0.5, v[26:27]
	v_add_f64 v[84:85], v[40:41], -v[24:25]
	v_fma_f64 v[28:29], v[101:102], -0.5, v[28:29]
	v_add_f64 v[154:155], v[42:43], -v[40:41]
	v_fma_f64 v[105:106], v[105:106], -0.5, v[32:33]
	v_add_f64 v[42:43], v[40:41], -v[42:43]
	v_fma_f64 v[111:112], v[111:112], -0.5, v[34:35]
	v_add_f64 v[66:67], v[78:79], v[82:83]
	v_fma_f64 v[32:33], v[107:108], -0.5, v[32:33]
	v_add_f64 v[107:108], v[64:65], -v[18:19]
	v_fma_f64 v[34:35], v[113:114], -0.5, v[34:35]
	v_add_f64 v[78:79], v[86:87], v[99:100]
	v_add_f64 v[86:87], v[2:3], v[119:120]
	;; [unrolled: 1-line block ×7, first 2 shown]
	v_add_f64 v[113:114], v[18:19], -v[4:5]
	v_add_f64 v[158:159], v[24:25], -v[8:9]
	;; [unrolled: 1-line block ×8, first 2 shown]
	v_add3_u32 v91, 0, v142, v91
	v_fma_f64 v[64:65], v[70:71], s[14:15], v[60:61]
	v_fma_f64 v[60:61], v[70:71], s[16:17], v[60:61]
	;; [unrolled: 1-line block ×24, first 2 shown]
	v_add_f64 v[30:31], v[48:49], v[30:31]
	v_add_f64 v[20:21], v[44:45], v[20:21]
	;; [unrolled: 1-line block ×14, first 2 shown]
	v_fma_f64 v[40:41], v[74:75], s[10:11], v[64:65]
	v_fma_f64 v[42:43], v[74:75], s[12:13], v[60:61]
	;; [unrolled: 1-line block ×24, first 2 shown]
	v_add_f64 v[10:11], v[30:31], v[10:11]
	v_add_f64 v[12:13], v[20:21], v[14:15]
	;; [unrolled: 1-line block ×6, first 2 shown]
	v_add_co_u32 v121, s1, s8, v58
	s_delay_alu instid0(VALU_DEP_1) | instskip(SKIP_1) | instid1(VALU_DEP_3)
	v_add_co_ci_u32_e64 v122, s1, s9, v59, s1
	v_lshlrev_b64 v[111:112], 4, v[95:96]
	v_add_co_u32 v119, s1, 0x13f0, v121
	s_delay_alu instid0(VALU_DEP_1)
	v_add_co_ci_u32_e64 v120, s1, 0, v122, s1
	v_fma_f64 v[4:5], v[66:67], s[4:5], v[40:41]
	v_fma_f64 v[6:7], v[82:83], s[4:5], v[46:47]
	;; [unrolled: 1-line block ×24, first 2 shown]
	v_add_co_u32 v64, s1, s8, v62
	s_delay_alu instid0(VALU_DEP_1) | instskip(SKIP_1) | instid1(VALU_DEP_1)
	v_add_co_ci_u32_e64 v65, s1, s9, v63, s1
	v_add_co_u32 v8, s1, 0x1000, v121
	v_add_co_ci_u32_e64 v9, s1, 0, v122, s1
	s_delay_alu instid0(VALU_DEP_4) | instskip(NEXT) | instid1(VALU_DEP_1)
	v_add_co_u32 v62, s1, 0x13f0, v64
	v_add_co_ci_u32_e64 v63, s1, 0, v65, s1
	v_add_co_u32 v64, s1, 0x1000, v64
	s_delay_alu instid0(VALU_DEP_1) | instskip(SKIP_1) | instid1(VALU_DEP_1)
	v_add_co_ci_u32_e64 v65, s1, 0, v65, s1
	v_add_co_u32 v66, s1, s8, v111
	v_add_co_ci_u32_e64 v67, s1, s9, v112, s1
	v_add3_u32 v123, 0, v165, v166
	ds_store_b128 v164, v[10:13]
	ds_store_b128 v164, v[4:7] offset:1056
	ds_store_b128 v164, v[22:25] offset:2112
	ds_store_b128 v164, v[26:29] offset:3168
	ds_store_b128 v164, v[18:21] offset:4224
	ds_store_b128 v123, v[14:17]
	ds_store_b128 v123, v[30:33] offset:1056
	ds_store_b128 v123, v[38:41] offset:2112
	ds_store_b128 v123, v[42:45] offset:3168
	ds_store_b128 v123, v[34:37] offset:4224
	;; [unrolled: 5-line block ×3, first 2 shown]
	s_waitcnt lgkmcnt(0)
	s_barrier
	buffer_gl0_inv
	s_clause 0x2
	global_load_b128 v[0:3], v[8:9], off offset:1008
	global_load_b128 v[4:7], v[119:120], off offset:32
	;; [unrolled: 1-line block ×3, first 2 shown]
	v_add_co_u32 v32, s1, 0x1000, v66
	s_clause 0x3
	global_load_b128 v[12:15], v[119:120], off offset:48
	global_load_b128 v[16:19], v[64:65], off offset:1008
	;; [unrolled: 1-line block ×4, first 2 shown]
	v_add_co_ci_u32_e64 v33, s1, 0, v67, s1
	v_add_co_u32 v44, s1, 0x13f0, v66
	s_delay_alu instid0(VALU_DEP_1)
	v_add_co_ci_u32_e64 v45, s1, 0, v67, s1
	s_clause 0x4
	global_load_b128 v[28:31], v[62:63], off offset:48
	global_load_b128 v[32:35], v[32:33], off offset:1008
	;; [unrolled: 1-line block ×5, first 2 shown]
	ds_load_b128 v[48:51], v143 offset:5280
	ds_load_b128 v[52:55], v143 offset:10560
	;; [unrolled: 1-line block ×12, first 2 shown]
	s_waitcnt vmcnt(11) lgkmcnt(11)
	v_mul_f64 v[105:106], v[50:51], v[2:3]
	s_waitcnt vmcnt(10) lgkmcnt(9)
	v_mul_f64 v[109:110], v[58:59], v[6:7]
	s_waitcnt vmcnt(9)
	v_mul_f64 v[107:108], v[54:55], v[10:11]
	v_mul_f64 v[10:11], v[52:53], v[10:11]
	s_waitcnt vmcnt(8) lgkmcnt(8)
	v_mul_f64 v[111:112], v[62:63], v[14:15]
	v_mul_f64 v[14:15], v[60:61], v[14:15]
	;; [unrolled: 1-line block ×4, first 2 shown]
	s_waitcnt vmcnt(7) lgkmcnt(7)
	v_mul_f64 v[113:114], v[66:67], v[18:19]
	s_waitcnt vmcnt(5) lgkmcnt(6)
	v_mul_f64 v[115:116], v[70:71], v[26:27]
	s_waitcnt lgkmcnt(5)
	v_mul_f64 v[117:118], v[74:75], v[22:23]
	v_mul_f64 v[26:27], v[68:69], v[26:27]
	;; [unrolled: 1-line block ×4, first 2 shown]
	s_waitcnt vmcnt(4) lgkmcnt(4)
	v_mul_f64 v[119:120], v[78:79], v[30:31]
	v_mul_f64 v[30:31], v[76:77], v[30:31]
	s_waitcnt vmcnt(2) lgkmcnt(2)
	v_mul_f64 v[123:124], v[86:87], v[38:39]
	s_waitcnt vmcnt(1) lgkmcnt(1)
	v_mul_f64 v[125:126], v[99:100], v[42:43]
	v_mul_f64 v[38:39], v[84:85], v[38:39]
	;; [unrolled: 1-line block ×5, first 2 shown]
	s_waitcnt vmcnt(0) lgkmcnt(0)
	v_mul_f64 v[128:129], v[103:104], v[46:47]
	v_mul_f64 v[46:47], v[101:102], v[46:47]
	v_fma_f64 v[48:49], v[48:49], v[0:1], v[105:106]
	v_fma_f64 v[56:57], v[56:57], v[4:5], v[109:110]
	;; [unrolled: 1-line block ×3, first 2 shown]
	v_fma_f64 v[54:55], v[54:55], v[8:9], -v[10:11]
	v_fma_f64 v[60:61], v[60:61], v[12:13], v[111:112]
	v_fma_f64 v[12:13], v[62:63], v[12:13], -v[14:15]
	v_fma_f64 v[14:15], v[58:59], v[4:5], -v[6:7]
	v_fma_f64 v[50:51], v[50:51], v[0:1], -v[2:3]
	v_fma_f64 v[58:59], v[64:65], v[16:17], v[113:114]
	v_fma_f64 v[62:63], v[68:69], v[24:25], v[115:116]
	;; [unrolled: 1-line block ×3, first 2 shown]
	v_fma_f64 v[24:25], v[70:71], v[24:25], -v[26:27]
	v_fma_f64 v[20:21], v[74:75], v[20:21], -v[22:23]
	;; [unrolled: 1-line block ×3, first 2 shown]
	v_fma_f64 v[18:19], v[76:77], v[28:29], v[119:120]
	v_fma_f64 v[22:23], v[78:79], v[28:29], -v[30:31]
	v_fma_f64 v[28:29], v[84:85], v[36:37], v[123:124]
	v_fma_f64 v[30:31], v[97:98], v[40:41], v[125:126]
	v_fma_f64 v[36:37], v[86:87], v[36:37], -v[38:39]
	v_fma_f64 v[38:39], v[99:100], v[40:41], -v[42:43]
	v_fma_f64 v[26:27], v[80:81], v[32:33], v[121:122]
	v_fma_f64 v[32:33], v[82:83], v[32:33], -v[34:35]
	v_fma_f64 v[34:35], v[101:102], v[44:45], v[128:129]
	v_fma_f64 v[40:41], v[103:104], v[44:45], -v[46:47]
	ds_load_b128 v[0:3], v143
	ds_load_b128 v[4:7], v127
	ds_load_b128 v[8:11], v143 offset:3520
	s_waitcnt lgkmcnt(0)
	s_barrier
	buffer_gl0_inv
	v_add_f64 v[42:43], v[52:53], v[56:57]
	v_add_f64 v[74:75], v[48:49], -v[52:53]
	v_add_f64 v[46:47], v[48:49], v[60:61]
	v_add_f64 v[78:79], v[60:61], -v[56:57]
	v_add_f64 v[68:69], v[54:55], v[14:15]
	v_add_f64 v[72:73], v[50:51], v[12:13]
	;; [unrolled: 1-line block ×5, first 2 shown]
	v_add_f64 v[66:67], v[50:51], -v[12:13]
	v_add_f64 v[84:85], v[24:25], v[20:21]
	v_add_f64 v[82:83], v[52:53], -v[48:49]
	v_add_f64 v[80:81], v[58:59], v[18:19]
	v_add_f64 v[97:98], v[16:17], v[22:23]
	v_add_f64 v[86:87], v[56:57], -v[60:61]
	v_add_f64 v[101:102], v[28:29], v[30:31]
	v_add_f64 v[48:49], v[48:49], -v[60:61]
	v_add_f64 v[107:108], v[36:37], v[38:39]
	v_add_f64 v[132:133], v[6:7], v[16:17]
	;; [unrolled: 1-line block ×5, first 2 shown]
	v_add_f64 v[70:71], v[54:55], -v[14:15]
	v_add_f64 v[105:106], v[52:53], -v[56:57]
	;; [unrolled: 1-line block ×4, first 2 shown]
	v_add_f64 v[138:139], v[10:11], v[32:33]
	v_add_f64 v[117:118], v[4:5], v[58:59]
	v_add_f64 v[119:120], v[16:17], -v[22:23]
	v_add_f64 v[123:124], v[58:59], -v[62:63]
	;; [unrolled: 1-line block ×10, first 2 shown]
	v_fma_f64 v[42:43], v[42:43], -0.5, v[0:1]
	v_add_f64 v[140:141], v[16:17], -v[24:25]
	v_fma_f64 v[0:1], v[46:47], -0.5, v[0:1]
	v_add_f64 v[16:17], v[24:25], -v[16:17]
	v_fma_f64 v[68:69], v[68:69], -0.5, v[2:3]
	v_fma_f64 v[2:3], v[72:73], -0.5, v[2:3]
	v_add_f64 v[72:73], v[20:21], -v[22:23]
	v_add_f64 v[44:45], v[44:45], v[52:53]
	v_fma_f64 v[76:77], v[76:77], -0.5, v[4:5]
	v_add_f64 v[54:55], v[99:100], v[54:55]
	v_fma_f64 v[84:85], v[84:85], -0.5, v[6:7]
	v_add_f64 v[125:126], v[18:19], -v[64:65]
	v_fma_f64 v[4:5], v[80:81], -0.5, v[4:5]
	v_fma_f64 v[6:7], v[97:98], -0.5, v[6:7]
	v_add_f64 v[80:81], v[36:37], -v[38:39]
	v_fma_f64 v[101:102], v[101:102], -0.5, v[8:9]
	v_add_f64 v[130:131], v[64:65], -v[18:19]
	v_fma_f64 v[107:108], v[107:108], -0.5, v[10:11]
	v_add_f64 v[146:147], v[26:27], -v[28:29]
	v_add_f64 v[26:27], v[28:29], -v[26:27]
	v_fma_f64 v[8:9], v[103:104], -0.5, v[8:9]
	v_add_f64 v[103:104], v[28:29], -v[30:31]
	v_fma_f64 v[10:11], v[109:110], -0.5, v[10:11]
	v_add_f64 v[150:151], v[32:33], -v[36:37]
	v_add_f64 v[32:33], v[36:37], -v[32:33]
	;; [unrolled: 1-line block ×3, first 2 shown]
	v_add_f64 v[52:53], v[74:75], v[78:79]
	v_add_f64 v[74:75], v[82:83], v[86:87]
	;; [unrolled: 1-line block ×6, first 2 shown]
	v_add_f64 v[109:110], v[30:31], -v[34:35]
	v_add_f64 v[62:63], v[117:118], v[62:63]
	v_add_f64 v[46:47], v[22:23], -v[20:21]
	v_add_f64 v[50:51], v[50:51], v[115:116]
	v_add_f64 v[97:98], v[34:35], -v[30:31]
	v_add_f64 v[152:153], v[40:41], -v[38:39]
	v_fma_f64 v[82:83], v[66:67], s[14:15], v[42:43]
	v_fma_f64 v[42:43], v[66:67], s[16:17], v[42:43]
	;; [unrolled: 1-line block ×24, first 2 shown]
	v_add_f64 v[72:73], v[16:17], v[72:73]
	v_add_f64 v[16:17], v[44:45], v[56:57]
	;; [unrolled: 1-line block ×14, first 2 shown]
	v_fma_f64 v[30:31], v[70:71], s[10:11], v[82:83]
	v_fma_f64 v[32:33], v[70:71], s[12:13], v[42:43]
	;; [unrolled: 1-line block ×24, first 2 shown]
	v_add_f64 v[0:1], v[16:17], v[60:61]
	v_add_f64 v[2:3], v[14:15], v[12:13]
	;; [unrolled: 1-line block ×6, first 2 shown]
	v_fma_f64 v[12:13], v[52:53], s[4:5], v[30:31]
	v_fma_f64 v[16:17], v[52:53], s[4:5], v[32:33]
	v_fma_f64 v[20:21], v[74:75], s[4:5], v[36:37]
	v_fma_f64 v[24:25], v[74:75], s[4:5], v[38:39]
	v_fma_f64 v[14:15], v[78:79], s[4:5], v[42:43]
	v_fma_f64 v[22:23], v[50:51], s[4:5], v[54:55]
	v_fma_f64 v[26:27], v[50:51], s[4:5], v[48:49]
	v_fma_f64 v[18:19], v[78:79], s[4:5], v[44:45]
	v_fma_f64 v[28:29], v[123:124], s[4:5], v[56:57]
	v_fma_f64 v[32:33], v[123:124], s[4:5], v[62:63]
	v_fma_f64 v[30:31], v[46:47], s[4:5], v[68:69]
	v_fma_f64 v[34:35], v[46:47], s[4:5], v[70:71]
	v_fma_f64 v[36:37], v[125:126], s[4:5], v[64:65]
	v_fma_f64 v[38:39], v[72:73], s[4:5], v[76:77]
	v_fma_f64 v[40:41], v[125:126], s[4:5], v[66:67]
	v_fma_f64 v[42:43], v[72:73], s[4:5], v[58:59]
	v_fma_f64 v[44:45], v[97:98], s[4:5], v[82:83]
	v_fma_f64 v[46:47], v[128:129], s[4:5], v[99:100]
	v_fma_f64 v[48:49], v[97:98], s[4:5], v[80:81]
	v_fma_f64 v[50:51], v[128:129], s[4:5], v[103:104]
	v_fma_f64 v[52:53], v[109:110], s[4:5], v[84:85]
	v_fma_f64 v[56:57], v[109:110], s[4:5], v[86:87]
	v_fma_f64 v[54:55], v[130:131], s[4:5], v[101:102]
	v_fma_f64 v[58:59], v[130:131], s[4:5], v[105:106]
	ds_store_b128 v143, v[0:3]
	ds_store_b128 v143, v[12:15] offset:5280
	ds_store_b128 v143, v[20:23] offset:10560
	;; [unrolled: 1-line block ×4, first 2 shown]
	ds_store_b128 v127, v[4:7]
	ds_store_b128 v127, v[28:31] offset:5280
	ds_store_b128 v127, v[36:39] offset:10560
	;; [unrolled: 1-line block ×9, first 2 shown]
	s_waitcnt lgkmcnt(0)
	s_barrier
	buffer_gl0_inv
	ds_load_b128 v[4:7], v143
	v_lshlrev_b32_e32 v0, 4, v90
	s_add_u32 s4, s8, 0x6670
	s_addc_u32 s5, s9, 0
	s_mov_b32 s8, exec_lo
                                        ; implicit-def: $vgpr2_vgpr3
                                        ; implicit-def: $vgpr8_vgpr9
                                        ; implicit-def: $vgpr10_vgpr11
	s_delay_alu instid0(VALU_DEP_1)
	v_sub_nc_u32_e32 v12, 0, v0
	v_cmpx_ne_u32_e32 0, v90
	s_xor_b32 s8, exec_lo, s8
	s_cbranch_execz .LBB0_21
; %bb.20:
	v_mov_b32_e32 v91, v96
	s_delay_alu instid0(VALU_DEP_1) | instskip(NEXT) | instid1(VALU_DEP_1)
	v_lshlrev_b64 v[0:1], 4, v[90:91]
	v_add_co_u32 v0, s1, s4, v0
	s_delay_alu instid0(VALU_DEP_1)
	v_add_co_ci_u32_e64 v1, s1, s5, v1, s1
	global_load_b128 v[13:16], v[0:1], off
	ds_load_b128 v[0:3], v12 offset:26400
	s_waitcnt lgkmcnt(0)
	v_add_f64 v[8:9], v[4:5], -v[0:1]
	v_add_f64 v[10:11], v[6:7], v[2:3]
	v_add_f64 v[2:3], v[6:7], -v[2:3]
	v_add_f64 v[0:1], v[4:5], v[0:1]
	s_delay_alu instid0(VALU_DEP_4) | instskip(NEXT) | instid1(VALU_DEP_4)
	v_mul_f64 v[6:7], v[8:9], 0.5
	v_mul_f64 v[4:5], v[10:11], 0.5
	s_delay_alu instid0(VALU_DEP_4) | instskip(SKIP_1) | instid1(VALU_DEP_3)
	v_mul_f64 v[2:3], v[2:3], 0.5
	s_waitcnt vmcnt(0)
	v_mul_f64 v[8:9], v[6:7], v[15:16]
	s_delay_alu instid0(VALU_DEP_2) | instskip(SKIP_1) | instid1(VALU_DEP_3)
	v_fma_f64 v[10:11], v[4:5], v[15:16], v[2:3]
	v_fma_f64 v[2:3], v[4:5], v[15:16], -v[2:3]
	v_fma_f64 v[17:18], v[0:1], 0.5, v[8:9]
	v_fma_f64 v[0:1], v[0:1], 0.5, -v[8:9]
	s_delay_alu instid0(VALU_DEP_4) | instskip(NEXT) | instid1(VALU_DEP_4)
	v_fma_f64 v[8:9], -v[13:14], v[6:7], v[10:11]
	v_fma_f64 v[2:3], -v[13:14], v[6:7], v[2:3]
	v_dual_mov_b32 v10, v90 :: v_dual_mov_b32 v11, v91
	v_fma_f64 v[15:16], v[4:5], v[13:14], v[17:18]
	v_fma_f64 v[0:1], -v[4:5], v[13:14], v[0:1]
                                        ; implicit-def: $vgpr4_vgpr5
	ds_store_b64 v143, v[15:16]
.LBB0_21:
	s_and_not1_saveexec_b32 s1, s8
	s_cbranch_execz .LBB0_23
; %bb.22:
	s_waitcnt lgkmcnt(0)
	v_add_f64 v[13:14], v[4:5], v[6:7]
	v_add_f64 v[0:1], v[4:5], -v[6:7]
	v_mov_b32_e32 v6, 0
	v_mov_b32_e32 v8, 0
	v_dual_mov_b32 v9, 0 :: v_dual_mov_b32 v10, 0
	s_delay_alu instid0(VALU_DEP_2)
	v_mov_b32_e32 v2, v8
	ds_load_b64 v[4:5], v6 offset:13208
	v_mov_b32_e32 v11, 0
	v_mov_b32_e32 v3, v9
	s_waitcnt lgkmcnt(0)
	v_xor_b32_e32 v5, 0x80000000, v5
	ds_store_b64 v143, v[13:14]
	ds_store_b64 v6, v[4:5] offset:13208
.LBB0_23:
	s_or_b32 exec_lo, exec_lo, s1
	v_mov_b32_e32 v95, 0
	s_waitcnt lgkmcnt(0)
	s_delay_alu instid0(VALU_DEP_1) | instskip(NEXT) | instid1(VALU_DEP_1)
	v_lshlrev_b64 v[4:5], 4, v[94:95]
	v_add_co_u32 v4, s1, s4, v4
	s_delay_alu instid0(VALU_DEP_1) | instskip(SKIP_2) | instid1(VALU_DEP_1)
	v_add_co_ci_u32_e64 v5, s1, s5, v5, s1
	global_load_b128 v[13:16], v[4:5], off
	v_lshlrev_b64 v[4:5], 4, v[10:11]
	v_add_co_u32 v4, s1, s4, v4
	s_delay_alu instid0(VALU_DEP_1)
	v_add_co_ci_u32_e64 v5, s1, s5, v5, s1
	global_load_b128 v[17:20], v[4:5], off offset:3520
	ds_store_b64 v143, v[8:9] offset:8
	ds_store_b128 v12, v[0:3] offset:26400
	ds_load_b128 v[0:3], v127
	ds_load_b128 v[6:9], v12 offset:24640
	s_waitcnt lgkmcnt(0)
	v_add_f64 v[10:11], v[0:1], -v[6:7]
	v_add_f64 v[21:22], v[2:3], v[8:9]
	v_add_f64 v[2:3], v[2:3], -v[8:9]
	v_add_f64 v[0:1], v[0:1], v[6:7]
	s_delay_alu instid0(VALU_DEP_4) | instskip(NEXT) | instid1(VALU_DEP_4)
	v_mul_f64 v[8:9], v[10:11], 0.5
	v_mul_f64 v[10:11], v[21:22], 0.5
	s_delay_alu instid0(VALU_DEP_4) | instskip(SKIP_1) | instid1(VALU_DEP_3)
	v_mul_f64 v[2:3], v[2:3], 0.5
	s_waitcnt vmcnt(1)
	v_mul_f64 v[6:7], v[8:9], v[15:16]
	s_delay_alu instid0(VALU_DEP_2) | instskip(SKIP_1) | instid1(VALU_DEP_3)
	v_fma_f64 v[21:22], v[10:11], v[15:16], v[2:3]
	v_fma_f64 v[15:16], v[10:11], v[15:16], -v[2:3]
	v_fma_f64 v[23:24], v[0:1], 0.5, v[6:7]
	v_fma_f64 v[6:7], v[0:1], 0.5, -v[6:7]
	s_delay_alu instid0(VALU_DEP_4) | instskip(NEXT) | instid1(VALU_DEP_4)
	v_fma_f64 v[2:3], -v[13:14], v[8:9], v[21:22]
	v_fma_f64 v[8:9], -v[13:14], v[8:9], v[15:16]
	s_delay_alu instid0(VALU_DEP_4) | instskip(NEXT) | instid1(VALU_DEP_4)
	v_fma_f64 v[0:1], v[10:11], v[13:14], v[23:24]
	v_fma_f64 v[6:7], -v[10:11], v[13:14], v[6:7]
	v_add_co_u32 v10, s1, 0x1000, v4
	s_delay_alu instid0(VALU_DEP_1)
	v_add_co_ci_u32_e64 v11, s1, 0, v5, s1
	global_load_b128 v[13:16], v[10:11], off offset:1184
	ds_store_b128 v127, v[0:3]
	ds_store_b128 v12, v[6:9] offset:24640
	ds_load_b128 v[0:3], v143 offset:3520
	ds_load_b128 v[6:9], v12 offset:22880
	s_waitcnt lgkmcnt(0)
	v_add_f64 v[21:22], v[0:1], -v[6:7]
	v_add_f64 v[23:24], v[2:3], v[8:9]
	v_add_f64 v[2:3], v[2:3], -v[8:9]
	v_add_f64 v[0:1], v[0:1], v[6:7]
	s_delay_alu instid0(VALU_DEP_4) | instskip(NEXT) | instid1(VALU_DEP_4)
	v_mul_f64 v[8:9], v[21:22], 0.5
	v_mul_f64 v[21:22], v[23:24], 0.5
	s_delay_alu instid0(VALU_DEP_4) | instskip(SKIP_1) | instid1(VALU_DEP_3)
	v_mul_f64 v[2:3], v[2:3], 0.5
	s_waitcnt vmcnt(1)
	v_mul_f64 v[6:7], v[8:9], v[19:20]
	s_delay_alu instid0(VALU_DEP_2) | instskip(SKIP_1) | instid1(VALU_DEP_3)
	v_fma_f64 v[23:24], v[21:22], v[19:20], v[2:3]
	v_fma_f64 v[19:20], v[21:22], v[19:20], -v[2:3]
	v_fma_f64 v[25:26], v[0:1], 0.5, v[6:7]
	v_fma_f64 v[6:7], v[0:1], 0.5, -v[6:7]
	s_delay_alu instid0(VALU_DEP_4) | instskip(NEXT) | instid1(VALU_DEP_4)
	v_fma_f64 v[2:3], -v[17:18], v[8:9], v[23:24]
	v_fma_f64 v[8:9], -v[17:18], v[8:9], v[19:20]
	s_delay_alu instid0(VALU_DEP_4) | instskip(NEXT) | instid1(VALU_DEP_4)
	v_fma_f64 v[0:1], v[21:22], v[17:18], v[25:26]
	v_fma_f64 v[6:7], -v[21:22], v[17:18], v[6:7]
	global_load_b128 v[17:20], v[10:11], off offset:2944
	ds_store_b128 v143, v[0:3] offset:3520
	ds_store_b128 v12, v[6:9] offset:22880
	ds_load_b128 v[0:3], v143 offset:5280
	ds_load_b128 v[6:9], v12 offset:21120
	s_waitcnt lgkmcnt(0)
	v_add_f64 v[10:11], v[0:1], -v[6:7]
	v_add_f64 v[21:22], v[2:3], v[8:9]
	v_add_f64 v[2:3], v[2:3], -v[8:9]
	v_add_f64 v[0:1], v[0:1], v[6:7]
	s_delay_alu instid0(VALU_DEP_4) | instskip(NEXT) | instid1(VALU_DEP_4)
	v_mul_f64 v[8:9], v[10:11], 0.5
	v_mul_f64 v[10:11], v[21:22], 0.5
	s_delay_alu instid0(VALU_DEP_4) | instskip(SKIP_1) | instid1(VALU_DEP_3)
	v_mul_f64 v[2:3], v[2:3], 0.5
	s_waitcnt vmcnt(1)
	v_mul_f64 v[6:7], v[8:9], v[15:16]
	s_delay_alu instid0(VALU_DEP_2) | instskip(SKIP_1) | instid1(VALU_DEP_3)
	v_fma_f64 v[21:22], v[10:11], v[15:16], v[2:3]
	v_fma_f64 v[15:16], v[10:11], v[15:16], -v[2:3]
	v_fma_f64 v[23:24], v[0:1], 0.5, v[6:7]
	v_fma_f64 v[6:7], v[0:1], 0.5, -v[6:7]
	s_delay_alu instid0(VALU_DEP_4) | instskip(NEXT) | instid1(VALU_DEP_4)
	v_fma_f64 v[2:3], -v[13:14], v[8:9], v[21:22]
	v_fma_f64 v[8:9], -v[13:14], v[8:9], v[15:16]
	s_delay_alu instid0(VALU_DEP_4) | instskip(NEXT) | instid1(VALU_DEP_4)
	v_fma_f64 v[0:1], v[10:11], v[13:14], v[23:24]
	v_fma_f64 v[6:7], -v[10:11], v[13:14], v[6:7]
	v_add_co_u32 v10, s1, 0x2000, v4
	s_delay_alu instid0(VALU_DEP_1)
	v_add_co_ci_u32_e64 v11, s1, 0, v5, s1
	global_load_b128 v[13:16], v[10:11], off offset:608
	ds_store_b128 v143, v[0:3] offset:5280
	ds_store_b128 v12, v[6:9] offset:21120
	ds_load_b128 v[0:3], v143 offset:7040
	ds_load_b128 v[6:9], v12 offset:19360
	s_waitcnt lgkmcnt(0)
	v_add_f64 v[21:22], v[0:1], -v[6:7]
	v_add_f64 v[23:24], v[2:3], v[8:9]
	v_add_f64 v[2:3], v[2:3], -v[8:9]
	v_add_f64 v[0:1], v[0:1], v[6:7]
	s_delay_alu instid0(VALU_DEP_4) | instskip(NEXT) | instid1(VALU_DEP_4)
	v_mul_f64 v[8:9], v[21:22], 0.5
	v_mul_f64 v[21:22], v[23:24], 0.5
	s_delay_alu instid0(VALU_DEP_4) | instskip(SKIP_1) | instid1(VALU_DEP_3)
	v_mul_f64 v[2:3], v[2:3], 0.5
	s_waitcnt vmcnt(1)
	v_mul_f64 v[6:7], v[8:9], v[19:20]
	s_delay_alu instid0(VALU_DEP_2) | instskip(SKIP_1) | instid1(VALU_DEP_3)
	v_fma_f64 v[23:24], v[21:22], v[19:20], v[2:3]
	v_fma_f64 v[19:20], v[21:22], v[19:20], -v[2:3]
	v_fma_f64 v[25:26], v[0:1], 0.5, v[6:7]
	v_fma_f64 v[6:7], v[0:1], 0.5, -v[6:7]
	s_delay_alu instid0(VALU_DEP_4) | instskip(NEXT) | instid1(VALU_DEP_4)
	v_fma_f64 v[2:3], -v[17:18], v[8:9], v[23:24]
	v_fma_f64 v[8:9], -v[17:18], v[8:9], v[19:20]
	s_delay_alu instid0(VALU_DEP_4) | instskip(NEXT) | instid1(VALU_DEP_4)
	v_fma_f64 v[0:1], v[21:22], v[17:18], v[25:26]
	v_fma_f64 v[6:7], -v[21:22], v[17:18], v[6:7]
	global_load_b128 v[17:20], v[10:11], off offset:2368
	ds_store_b128 v143, v[0:3] offset:7040
	ds_store_b128 v12, v[6:9] offset:19360
	ds_load_b128 v[0:3], v143 offset:8800
	ds_load_b128 v[6:9], v12 offset:17600
	s_waitcnt lgkmcnt(0)
	v_add_f64 v[10:11], v[0:1], -v[6:7]
	v_add_f64 v[21:22], v[2:3], v[8:9]
	v_add_f64 v[2:3], v[2:3], -v[8:9]
	v_add_f64 v[0:1], v[0:1], v[6:7]
	s_delay_alu instid0(VALU_DEP_4) | instskip(NEXT) | instid1(VALU_DEP_4)
	v_mul_f64 v[8:9], v[10:11], 0.5
	v_mul_f64 v[10:11], v[21:22], 0.5
	s_delay_alu instid0(VALU_DEP_4) | instskip(SKIP_1) | instid1(VALU_DEP_3)
	v_mul_f64 v[2:3], v[2:3], 0.5
	s_waitcnt vmcnt(1)
	v_mul_f64 v[6:7], v[8:9], v[15:16]
	s_delay_alu instid0(VALU_DEP_2) | instskip(SKIP_1) | instid1(VALU_DEP_3)
	v_fma_f64 v[21:22], v[10:11], v[15:16], v[2:3]
	v_fma_f64 v[15:16], v[10:11], v[15:16], -v[2:3]
	v_fma_f64 v[23:24], v[0:1], 0.5, v[6:7]
	v_fma_f64 v[6:7], v[0:1], 0.5, -v[6:7]
	s_delay_alu instid0(VALU_DEP_4) | instskip(NEXT) | instid1(VALU_DEP_4)
	v_fma_f64 v[2:3], -v[13:14], v[8:9], v[21:22]
	v_fma_f64 v[8:9], -v[13:14], v[8:9], v[15:16]
	s_delay_alu instid0(VALU_DEP_4) | instskip(NEXT) | instid1(VALU_DEP_4)
	v_fma_f64 v[0:1], v[10:11], v[13:14], v[23:24]
	v_fma_f64 v[6:7], -v[10:11], v[13:14], v[6:7]
	ds_store_b128 v143, v[0:3] offset:8800
	ds_store_b128 v12, v[6:9] offset:17600
	ds_load_b128 v[0:3], v143 offset:10560
	ds_load_b128 v[6:9], v12 offset:15840
	s_waitcnt lgkmcnt(0)
	v_add_f64 v[10:11], v[0:1], -v[6:7]
	v_add_f64 v[13:14], v[2:3], v[8:9]
	v_add_f64 v[2:3], v[2:3], -v[8:9]
	v_add_f64 v[0:1], v[0:1], v[6:7]
	s_delay_alu instid0(VALU_DEP_4) | instskip(NEXT) | instid1(VALU_DEP_4)
	v_mul_f64 v[8:9], v[10:11], 0.5
	v_mul_f64 v[10:11], v[13:14], 0.5
	s_delay_alu instid0(VALU_DEP_4) | instskip(SKIP_1) | instid1(VALU_DEP_3)
	v_mul_f64 v[2:3], v[2:3], 0.5
	s_waitcnt vmcnt(0)
	v_mul_f64 v[6:7], v[8:9], v[19:20]
	s_delay_alu instid0(VALU_DEP_2) | instskip(SKIP_1) | instid1(VALU_DEP_3)
	v_fma_f64 v[13:14], v[10:11], v[19:20], v[2:3]
	v_fma_f64 v[15:16], v[10:11], v[19:20], -v[2:3]
	v_fma_f64 v[19:20], v[0:1], 0.5, v[6:7]
	v_fma_f64 v[6:7], v[0:1], 0.5, -v[6:7]
	s_delay_alu instid0(VALU_DEP_4) | instskip(NEXT) | instid1(VALU_DEP_4)
	v_fma_f64 v[2:3], -v[17:18], v[8:9], v[13:14]
	v_fma_f64 v[8:9], -v[17:18], v[8:9], v[15:16]
	s_delay_alu instid0(VALU_DEP_4) | instskip(NEXT) | instid1(VALU_DEP_4)
	v_fma_f64 v[0:1], v[10:11], v[17:18], v[19:20]
	v_fma_f64 v[6:7], -v[10:11], v[17:18], v[6:7]
	ds_store_b128 v143, v[0:3] offset:10560
	ds_store_b128 v12, v[6:9] offset:15840
	s_and_saveexec_b32 s1, s0
	s_cbranch_execz .LBB0_25
; %bb.24:
	v_add_co_u32 v0, s0, 0x3000, v4
	s_delay_alu instid0(VALU_DEP_1)
	v_add_co_ci_u32_e64 v1, s0, 0, v5, s0
	global_load_b128 v[0:3], v[0:1], off offset:32
	ds_load_b128 v[4:7], v143 offset:12320
	ds_load_b128 v[8:11], v12 offset:14080
	s_waitcnt lgkmcnt(0)
	v_add_f64 v[13:14], v[4:5], -v[8:9]
	v_add_f64 v[15:16], v[6:7], v[10:11]
	v_add_f64 v[6:7], v[6:7], -v[10:11]
	v_add_f64 v[4:5], v[4:5], v[8:9]
	s_delay_alu instid0(VALU_DEP_4) | instskip(NEXT) | instid1(VALU_DEP_4)
	v_mul_f64 v[10:11], v[13:14], 0.5
	v_mul_f64 v[13:14], v[15:16], 0.5
	s_delay_alu instid0(VALU_DEP_4) | instskip(SKIP_1) | instid1(VALU_DEP_3)
	v_mul_f64 v[6:7], v[6:7], 0.5
	s_waitcnt vmcnt(0)
	v_mul_f64 v[8:9], v[10:11], v[2:3]
	s_delay_alu instid0(VALU_DEP_2) | instskip(SKIP_1) | instid1(VALU_DEP_3)
	v_fma_f64 v[15:16], v[13:14], v[2:3], v[6:7]
	v_fma_f64 v[2:3], v[13:14], v[2:3], -v[6:7]
	v_fma_f64 v[6:7], v[4:5], 0.5, v[8:9]
	v_fma_f64 v[17:18], v[4:5], 0.5, -v[8:9]
	s_delay_alu instid0(VALU_DEP_4) | instskip(NEXT) | instid1(VALU_DEP_4)
	v_fma_f64 v[4:5], -v[0:1], v[10:11], v[15:16]
	v_fma_f64 v[8:9], -v[0:1], v[10:11], v[2:3]
	s_delay_alu instid0(VALU_DEP_4) | instskip(NEXT) | instid1(VALU_DEP_4)
	v_fma_f64 v[2:3], v[13:14], v[0:1], v[6:7]
	v_fma_f64 v[6:7], -v[13:14], v[0:1], v[17:18]
	ds_store_b128 v143, v[2:5] offset:12320
	ds_store_b128 v12, v[6:9] offset:14080
.LBB0_25:
	s_or_b32 exec_lo, exec_lo, s1
	s_waitcnt lgkmcnt(0)
	s_barrier
	buffer_gl0_inv
	s_and_saveexec_b32 s0, vcc_lo
	s_cbranch_execz .LBB0_28
; %bb.26:
	v_mul_lo_u32 v2, s3, v92
	v_mul_lo_u32 v3, s2, v93
	v_mad_u64_u32 v[0:1], null, s2, v92, 0
	v_lshl_add_u32 v31, v90, 4, 0
	v_dual_mov_b32 v91, 0 :: v_dual_add_nc_u32 v12, 0x6e, v90
	v_lshlrev_b64 v[10:11], 4, v[88:89]
	v_add_nc_u32_e32 v26, 0x294, v90
	v_add_nc_u32_e32 v30, 0x604, v90
	v_add3_u32 v1, v1, v3, v2
	ds_load_b128 v[2:5], v31
	ds_load_b128 v[6:9], v31 offset:1760
	v_mov_b32_e32 v13, v91
	v_lshlrev_b64 v[14:15], 4, v[90:91]
	v_mov_b32_e32 v25, v91
	v_lshlrev_b64 v[0:1], 4, v[0:1]
	v_dual_mov_b32 v27, v91 :: v_dual_add_nc_u32 v24, 0x226, v90
	s_delay_alu instid0(VALU_DEP_2) | instskip(NEXT) | instid1(VALU_DEP_3)
	v_add_co_u32 v0, vcc_lo, s6, v0
	v_add_co_ci_u32_e32 v1, vcc_lo, s7, v1, vcc_lo
	s_delay_alu instid0(VALU_DEP_3) | instskip(NEXT) | instid1(VALU_DEP_3)
	v_lshlrev_b64 v[24:25], 4, v[24:25]
	v_add_co_u32 v0, vcc_lo, v0, v10
	s_delay_alu instid0(VALU_DEP_3) | instskip(SKIP_1) | instid1(VALU_DEP_3)
	v_add_co_ci_u32_e32 v1, vcc_lo, v1, v11, vcc_lo
	v_lshlrev_b64 v[10:11], 4, v[12:13]
	v_add_co_u32 v12, vcc_lo, v0, v14
	s_delay_alu instid0(VALU_DEP_3) | instskip(SKIP_1) | instid1(VALU_DEP_4)
	v_add_co_ci_u32_e32 v13, vcc_lo, v1, v15, vcc_lo
	v_add_nc_u32_e32 v14, 0xdc, v90
	v_add_co_u32 v10, vcc_lo, v0, v10
	v_mov_b32_e32 v15, v91
	v_add_co_ci_u32_e32 v11, vcc_lo, v1, v11, vcc_lo
	s_waitcnt lgkmcnt(1)
	global_store_b128 v[12:13], v[2:5], off
	s_waitcnt lgkmcnt(0)
	global_store_b128 v[10:11], v[6:9], off
	v_add_nc_u32_e32 v10, 0x14a, v90
	v_lshlrev_b64 v[2:3], 4, v[14:15]
	v_dual_mov_b32 v11, v91 :: v_dual_add_nc_u32 v12, 0x1b8, v90
	v_mov_b32_e32 v13, v91
	s_delay_alu instid0(VALU_DEP_3) | instskip(NEXT) | instid1(VALU_DEP_4)
	v_add_co_u32 v18, vcc_lo, v0, v2
	v_add_co_ci_u32_e32 v19, vcc_lo, v1, v3, vcc_lo
	ds_load_b128 v[2:5], v31 offset:3520
	ds_load_b128 v[6:9], v31 offset:5280
	v_lshlrev_b64 v[20:21], 4, v[10:11]
	v_lshlrev_b64 v[22:23], 4, v[12:13]
	ds_load_b128 v[10:13], v31 offset:7040
	ds_load_b128 v[14:17], v31 offset:8800
	v_add_co_u32 v20, vcc_lo, v0, v20
	v_add_co_ci_u32_e32 v21, vcc_lo, v1, v21, vcc_lo
	v_add_co_u32 v22, vcc_lo, v0, v22
	v_add_co_ci_u32_e32 v23, vcc_lo, v1, v23, vcc_lo
	v_add_co_u32 v24, vcc_lo, v0, v24
	v_add_co_ci_u32_e32 v25, vcc_lo, v1, v25, vcc_lo
	s_waitcnt lgkmcnt(3)
	global_store_b128 v[18:19], v[2:5], off
	s_waitcnt lgkmcnt(2)
	global_store_b128 v[20:21], v[6:9], off
	;; [unrolled: 2-line block ×4, first 2 shown]
	v_add_nc_u32_e32 v10, 0x302, v90
	v_lshlrev_b64 v[2:3], 4, v[26:27]
	v_dual_mov_b32 v11, v91 :: v_dual_add_nc_u32 v12, 0x370, v90
	v_dual_mov_b32 v13, v91 :: v_dual_add_nc_u32 v24, 0x3de, v90
	;; [unrolled: 1-line block ×3, first 2 shown]
	s_delay_alu instid0(VALU_DEP_4)
	v_add_co_u32 v18, vcc_lo, v0, v2
	v_add_co_ci_u32_e32 v19, vcc_lo, v1, v3, vcc_lo
	ds_load_b128 v[2:5], v31 offset:10560
	ds_load_b128 v[6:9], v31 offset:12320
	v_lshlrev_b64 v[20:21], 4, v[10:11]
	v_lshlrev_b64 v[22:23], 4, v[12:13]
	ds_load_b128 v[10:13], v31 offset:14080
	ds_load_b128 v[14:17], v31 offset:15840
	v_lshlrev_b64 v[24:25], 4, v[24:25]
	v_add_co_u32 v20, vcc_lo, v0, v20
	v_add_co_ci_u32_e32 v21, vcc_lo, v1, v21, vcc_lo
	v_add_co_u32 v22, vcc_lo, v0, v22
	v_add_co_ci_u32_e32 v23, vcc_lo, v1, v23, vcc_lo
	v_add_co_u32 v24, vcc_lo, v0, v24
	v_add_co_ci_u32_e32 v25, vcc_lo, v1, v25, vcc_lo
	s_waitcnt lgkmcnt(3)
	global_store_b128 v[18:19], v[2:5], off
	s_waitcnt lgkmcnt(2)
	global_store_b128 v[20:21], v[6:9], off
	s_waitcnt lgkmcnt(1)
	global_store_b128 v[22:23], v[10:13], off
	s_waitcnt lgkmcnt(0)
	global_store_b128 v[24:25], v[14:17], off
	v_dual_mov_b32 v11, v91 :: v_dual_add_nc_u32 v10, 0x4ba, v90
	v_lshlrev_b64 v[2:3], 4, v[26:27]
	v_dual_mov_b32 v13, v91 :: v_dual_add_nc_u32 v12, 0x528, v90
	v_dual_mov_b32 v19, v91 :: v_dual_add_nc_u32 v18, 0x596, v90
	s_delay_alu instid0(VALU_DEP_4) | instskip(NEXT) | instid1(VALU_DEP_4)
	v_lshlrev_b64 v[10:11], 4, v[10:11]
	v_add_co_u32 v22, vcc_lo, v0, v2
	v_add_co_ci_u32_e32 v23, vcc_lo, v1, v3, vcc_lo
	ds_load_b128 v[2:5], v31 offset:17600
	ds_load_b128 v[6:9], v31 offset:19360
	v_add_co_u32 v24, vcc_lo, v0, v10
	v_add_co_ci_u32_e32 v25, vcc_lo, v1, v11, vcc_lo
	v_lshlrev_b64 v[26:27], 4, v[12:13]
	ds_load_b128 v[10:13], v31 offset:21120
	ds_load_b128 v[14:17], v31 offset:22880
	v_lshlrev_b64 v[28:29], 4, v[18:19]
	ds_load_b128 v[18:21], v31 offset:24640
	v_mov_b32_e32 v31, v91
	v_add_co_u32 v26, vcc_lo, v0, v26
	v_add_co_ci_u32_e32 v27, vcc_lo, v1, v27, vcc_lo
	s_delay_alu instid0(VALU_DEP_3) | instskip(SKIP_2) | instid1(VALU_DEP_3)
	v_lshlrev_b64 v[30:31], 4, v[30:31]
	v_add_co_u32 v28, vcc_lo, v0, v28
	v_add_co_ci_u32_e32 v29, vcc_lo, v1, v29, vcc_lo
	v_add_co_u32 v30, vcc_lo, v0, v30
	s_delay_alu instid0(VALU_DEP_4)
	v_add_co_ci_u32_e32 v31, vcc_lo, v1, v31, vcc_lo
	v_cmp_eq_u32_e32 vcc_lo, 0x6d, v90
	s_waitcnt lgkmcnt(4)
	global_store_b128 v[22:23], v[2:5], off
	s_waitcnt lgkmcnt(3)
	global_store_b128 v[24:25], v[6:9], off
	;; [unrolled: 2-line block ×5, first 2 shown]
	s_and_b32 exec_lo, exec_lo, vcc_lo
	s_cbranch_execz .LBB0_28
; %bb.27:
	ds_load_b128 v[2:5], v91 offset:26400
	v_add_co_u32 v0, vcc_lo, 0x6000, v0
	v_add_co_ci_u32_e32 v1, vcc_lo, 0, v1, vcc_lo
	s_waitcnt lgkmcnt(0)
	global_store_b128 v[0:1], v[2:5], off offset:1824
.LBB0_28:
	s_nop 0
	s_sendmsg sendmsg(MSG_DEALLOC_VGPRS)
	s_endpgm
	.section	.rodata,"a",@progbits
	.p2align	6, 0x0
	.amdhsa_kernel fft_rtc_back_len1650_factors_11_2_3_5_5_wgs_110_tpt_110_halfLds_dp_op_CI_CI_unitstride_sbrr_R2C_dirReg
		.amdhsa_group_segment_fixed_size 0
		.amdhsa_private_segment_fixed_size 0
		.amdhsa_kernarg_size 104
		.amdhsa_user_sgpr_count 15
		.amdhsa_user_sgpr_dispatch_ptr 0
		.amdhsa_user_sgpr_queue_ptr 0
		.amdhsa_user_sgpr_kernarg_segment_ptr 1
		.amdhsa_user_sgpr_dispatch_id 0
		.amdhsa_user_sgpr_private_segment_size 0
		.amdhsa_wavefront_size32 1
		.amdhsa_uses_dynamic_stack 0
		.amdhsa_enable_private_segment 0
		.amdhsa_system_sgpr_workgroup_id_x 1
		.amdhsa_system_sgpr_workgroup_id_y 0
		.amdhsa_system_sgpr_workgroup_id_z 0
		.amdhsa_system_sgpr_workgroup_info 0
		.amdhsa_system_vgpr_workitem_id 0
		.amdhsa_next_free_vgpr 194
		.amdhsa_next_free_sgpr 38
		.amdhsa_reserve_vcc 1
		.amdhsa_float_round_mode_32 0
		.amdhsa_float_round_mode_16_64 0
		.amdhsa_float_denorm_mode_32 3
		.amdhsa_float_denorm_mode_16_64 3
		.amdhsa_dx10_clamp 1
		.amdhsa_ieee_mode 1
		.amdhsa_fp16_overflow 0
		.amdhsa_workgroup_processor_mode 1
		.amdhsa_memory_ordered 1
		.amdhsa_forward_progress 0
		.amdhsa_shared_vgpr_count 0
		.amdhsa_exception_fp_ieee_invalid_op 0
		.amdhsa_exception_fp_denorm_src 0
		.amdhsa_exception_fp_ieee_div_zero 0
		.amdhsa_exception_fp_ieee_overflow 0
		.amdhsa_exception_fp_ieee_underflow 0
		.amdhsa_exception_fp_ieee_inexact 0
		.amdhsa_exception_int_div_zero 0
	.end_amdhsa_kernel
	.text
.Lfunc_end0:
	.size	fft_rtc_back_len1650_factors_11_2_3_5_5_wgs_110_tpt_110_halfLds_dp_op_CI_CI_unitstride_sbrr_R2C_dirReg, .Lfunc_end0-fft_rtc_back_len1650_factors_11_2_3_5_5_wgs_110_tpt_110_halfLds_dp_op_CI_CI_unitstride_sbrr_R2C_dirReg
                                        ; -- End function
	.section	.AMDGPU.csdata,"",@progbits
; Kernel info:
; codeLenInByte = 18532
; NumSgprs: 40
; NumVgprs: 194
; ScratchSize: 0
; MemoryBound: 0
; FloatMode: 240
; IeeeMode: 1
; LDSByteSize: 0 bytes/workgroup (compile time only)
; SGPRBlocks: 4
; VGPRBlocks: 24
; NumSGPRsForWavesPerEU: 40
; NumVGPRsForWavesPerEU: 194
; Occupancy: 7
; WaveLimiterHint : 1
; COMPUTE_PGM_RSRC2:SCRATCH_EN: 0
; COMPUTE_PGM_RSRC2:USER_SGPR: 15
; COMPUTE_PGM_RSRC2:TRAP_HANDLER: 0
; COMPUTE_PGM_RSRC2:TGID_X_EN: 1
; COMPUTE_PGM_RSRC2:TGID_Y_EN: 0
; COMPUTE_PGM_RSRC2:TGID_Z_EN: 0
; COMPUTE_PGM_RSRC2:TIDIG_COMP_CNT: 0
	.text
	.p2alignl 7, 3214868480
	.fill 96, 4, 3214868480
	.type	__hip_cuid_adfafedaa37f8845,@object ; @__hip_cuid_adfafedaa37f8845
	.section	.bss,"aw",@nobits
	.globl	__hip_cuid_adfafedaa37f8845
__hip_cuid_adfafedaa37f8845:
	.byte	0                               ; 0x0
	.size	__hip_cuid_adfafedaa37f8845, 1

	.ident	"AMD clang version 19.0.0git (https://github.com/RadeonOpenCompute/llvm-project roc-6.4.0 25133 c7fe45cf4b819c5991fe208aaa96edf142730f1d)"
	.section	".note.GNU-stack","",@progbits
	.addrsig
	.addrsig_sym __hip_cuid_adfafedaa37f8845
	.amdgpu_metadata
---
amdhsa.kernels:
  - .args:
      - .actual_access:  read_only
        .address_space:  global
        .offset:         0
        .size:           8
        .value_kind:     global_buffer
      - .offset:         8
        .size:           8
        .value_kind:     by_value
      - .actual_access:  read_only
        .address_space:  global
        .offset:         16
        .size:           8
        .value_kind:     global_buffer
      - .actual_access:  read_only
        .address_space:  global
        .offset:         24
        .size:           8
        .value_kind:     global_buffer
      - .actual_access:  read_only
        .address_space:  global
        .offset:         32
        .size:           8
        .value_kind:     global_buffer
      - .offset:         40
        .size:           8
        .value_kind:     by_value
      - .actual_access:  read_only
        .address_space:  global
        .offset:         48
        .size:           8
        .value_kind:     global_buffer
      - .actual_access:  read_only
        .address_space:  global
        .offset:         56
        .size:           8
        .value_kind:     global_buffer
      - .offset:         64
        .size:           4
        .value_kind:     by_value
      - .actual_access:  read_only
        .address_space:  global
        .offset:         72
        .size:           8
        .value_kind:     global_buffer
      - .actual_access:  read_only
        .address_space:  global
        .offset:         80
        .size:           8
        .value_kind:     global_buffer
      - .actual_access:  read_only
        .address_space:  global
        .offset:         88
        .size:           8
        .value_kind:     global_buffer
      - .actual_access:  write_only
        .address_space:  global
        .offset:         96
        .size:           8
        .value_kind:     global_buffer
    .group_segment_fixed_size: 0
    .kernarg_segment_align: 8
    .kernarg_segment_size: 104
    .language:       OpenCL C
    .language_version:
      - 2
      - 0
    .max_flat_workgroup_size: 110
    .name:           fft_rtc_back_len1650_factors_11_2_3_5_5_wgs_110_tpt_110_halfLds_dp_op_CI_CI_unitstride_sbrr_R2C_dirReg
    .private_segment_fixed_size: 0
    .sgpr_count:     40
    .sgpr_spill_count: 0
    .symbol:         fft_rtc_back_len1650_factors_11_2_3_5_5_wgs_110_tpt_110_halfLds_dp_op_CI_CI_unitstride_sbrr_R2C_dirReg.kd
    .uniform_work_group_size: 1
    .uses_dynamic_stack: false
    .vgpr_count:     194
    .vgpr_spill_count: 0
    .wavefront_size: 32
    .workgroup_processor_mode: 1
amdhsa.target:   amdgcn-amd-amdhsa--gfx1100
amdhsa.version:
  - 1
  - 2
...

	.end_amdgpu_metadata
